;; amdgpu-corpus repo=ROCm/rocFFT kind=compiled arch=gfx1030 opt=O3
	.text
	.amdgcn_target "amdgcn-amd-amdhsa--gfx1030"
	.amdhsa_code_object_version 6
	.protected	bluestein_single_fwd_len825_dim1_half_op_CI_CI ; -- Begin function bluestein_single_fwd_len825_dim1_half_op_CI_CI
	.globl	bluestein_single_fwd_len825_dim1_half_op_CI_CI
	.p2align	8
	.type	bluestein_single_fwd_len825_dim1_half_op_CI_CI,@function
bluestein_single_fwd_len825_dim1_half_op_CI_CI: ; @bluestein_single_fwd_len825_dim1_half_op_CI_CI
; %bb.0:
	s_load_dwordx4 s[12:15], s[4:5], 0x28
	v_mul_u32_u24_e32 v1, 0x4a8, v0
	v_mov_b32_e32 v25, 0
	s_mov_b32 s0, exec_lo
	v_lshrrev_b32_e32 v1, 16, v1
	v_add_nc_u32_e32 v24, s6, v1
	s_waitcnt lgkmcnt(0)
	v_cmpx_gt_u64_e64 s[12:13], v[24:25]
	s_cbranch_execz .LBB0_15
; %bb.1:
	s_clause 0x1
	s_load_dwordx4 s[8:11], s[4:5], 0x18
	s_load_dwordx2 s[6:7], s[4:5], 0x0
	v_mul_lo_u16 v1, v1, 55
	v_sub_nc_u16 v7, v0, v1
	v_and_b32_e32 v65, 0xffff, v7
	v_lshlrev_b32_e32 v56, 2, v65
	s_waitcnt lgkmcnt(0)
	s_load_dwordx4 s[0:3], s[8:9], 0x0
	s_waitcnt lgkmcnt(0)
	v_mad_u64_u32 v[0:1], null, s2, v24, 0
	v_mad_u64_u32 v[2:3], null, s0, v65, 0
	v_add_co_u32 v22, s2, s6, v56
	s_mul_hi_u32 s8, s0, 0x4b
	v_add_co_ci_u32_e64 v23, null, s7, 0, s2
	s_mul_i32 s2, s0, 0x4b
	v_mad_u64_u32 v[4:5], null, s3, v24, v[1:2]
	s_mul_i32 s3, s1, 0x4b
	s_add_i32 s3, s8, s3
	s_lshl_b64 s[2:3], s[2:3], 2
	v_mad_u64_u32 v[5:6], null, s1, v65, v[3:4]
	v_mov_b32_e32 v1, v4
	v_lshlrev_b64 v[0:1], 2, v[0:1]
	v_mov_b32_e32 v3, v5
	v_add_co_u32 v0, vcc_lo, s14, v0
	v_lshlrev_b64 v[2:3], 2, v[2:3]
	v_add_co_ci_u32_e32 v1, vcc_lo, s15, v1, vcc_lo
	v_add_co_u32 v0, vcc_lo, v0, v2
	v_add_co_ci_u32_e32 v1, vcc_lo, v1, v3, vcc_lo
	v_add_co_u32 v2, vcc_lo, v0, s2
	v_add_co_ci_u32_e32 v3, vcc_lo, s3, v1, vcc_lo
	global_load_dword v6, v[0:1], off
	v_add_co_u32 v0, vcc_lo, v2, s2
	v_add_co_ci_u32_e32 v1, vcc_lo, s3, v3, vcc_lo
	s_clause 0x1
	global_load_dword v68, v56, s[6:7]
	global_load_dword v67, v56, s[6:7] offset:300
	v_add_co_u32 v4, vcc_lo, v0, s2
	s_clause 0x1
	global_load_dword v8, v[2:3], off
	global_load_dword v9, v[0:1], off
	v_add_co_ci_u32_e32 v5, vcc_lo, s3, v1, vcc_lo
	v_add_co_u32 v0, vcc_lo, v4, s2
	v_add_co_ci_u32_e32 v1, vcc_lo, s3, v5, vcc_lo
	s_clause 0x4
	global_load_dword v66, v56, s[6:7] offset:600
	global_load_dword v64, v56, s[6:7] offset:900
	;; [unrolled: 1-line block ×5, first 2 shown]
	s_clause 0x1
	global_load_dword v4, v[4:5], off
	global_load_dword v5, v[0:1], off
	v_add_co_u32 v0, vcc_lo, v0, s2
	v_add_co_ci_u32_e32 v1, vcc_lo, s3, v1, vcc_lo
	v_add_co_u32 v20, vcc_lo, 0x800, v22
	v_add_co_ci_u32_e32 v21, vcc_lo, 0, v23, vcc_lo
	global_load_dword v10, v[0:1], off
	v_add_co_u32 v0, vcc_lo, v0, s2
	v_add_co_ci_u32_e32 v1, vcc_lo, s3, v1, vcc_lo
	global_load_dword v60, v[20:21], off offset:52
	v_add_co_u32 v2, vcc_lo, v0, s2
	v_add_co_ci_u32_e32 v3, vcc_lo, s3, v1, vcc_lo
	global_load_dword v11, v[0:1], off
	v_add_co_u32 v0, vcc_lo, v2, s2
	v_add_co_ci_u32_e32 v1, vcc_lo, s3, v3, vcc_lo
	global_load_dword v12, v[2:3], off
	;; [unrolled: 3-line block ×3, first 2 shown]
	v_add_co_u32 v0, vcc_lo, v2, s2
	v_add_co_ci_u32_e32 v1, vcc_lo, s3, v3, vcc_lo
	global_load_dword v59, v[20:21], off offset:352
	global_load_dword v3, v[2:3], off
	global_load_dword v14, v[0:1], off
	s_clause 0x1
	global_load_dword v58, v[20:21], off offset:652
	global_load_dword v57, v[20:21], off offset:952
	s_load_dwordx2 s[6:7], s[4:5], 0x38
	s_load_dwordx4 s[8:11], s[10:11], 0x0
	v_add_nc_u32_e32 v2, 0x400, v56
	v_cmp_gt_u16_e32 vcc_lo, 20, v7
	s_waitcnt vmcnt(21)
	v_lshrrev_b32_e32 v15, 16, v6
	s_waitcnt vmcnt(20)
	v_mul_f16_sdwa v16, v68, v6 dst_sel:DWORD dst_unused:UNUSED_PAD src0_sel:WORD_1 src1_sel:DWORD
	v_mul_f16_sdwa v17, v68, v15 dst_sel:DWORD dst_unused:UNUSED_PAD src0_sel:WORD_1 src1_sel:DWORD
	s_waitcnt vmcnt(18)
	v_lshrrev_b32_e32 v18, 16, v8
	v_mul_f16_sdwa v19, v67, v8 dst_sel:DWORD dst_unused:UNUSED_PAD src0_sel:WORD_1 src1_sel:DWORD
	v_fma_f16 v15, v68, v15, -v16
	v_fmac_f16_e32 v17, v68, v6
	s_waitcnt vmcnt(17)
	v_lshrrev_b32_e32 v16, 16, v9
	v_mul_f16_sdwa v6, v67, v18 dst_sel:DWORD dst_unused:UNUSED_PAD src0_sel:WORD_1 src1_sel:DWORD
	v_fma_f16 v18, v67, v18, -v19
	s_waitcnt vmcnt(16)
	v_mul_f16_sdwa v19, v66, v9 dst_sel:DWORD dst_unused:UNUSED_PAD src0_sel:WORD_1 src1_sel:DWORD
	v_pack_b32_f16 v15, v17, v15
	s_waitcnt vmcnt(11)
	v_lshrrev_b32_e32 v17, 16, v4
	v_fmac_f16_e32 v6, v67, v8
	v_mul_f16_sdwa v8, v66, v16 dst_sel:DWORD dst_unused:UNUSED_PAD src0_sel:WORD_1 src1_sel:DWORD
	v_mul_f16_sdwa v25, v64, v4 dst_sel:DWORD dst_unused:UNUSED_PAD src0_sel:WORD_1 src1_sel:DWORD
	v_fma_f16 v16, v66, v16, -v19
	s_waitcnt vmcnt(10)
	v_mul_f16_sdwa v19, v63, v5 dst_sel:DWORD dst_unused:UNUSED_PAD src0_sel:WORD_1 src1_sel:DWORD
	v_pack_b32_f16 v6, v6, v18
	v_fmac_f16_e32 v8, v66, v9
	v_mul_f16_sdwa v9, v64, v17 dst_sel:DWORD dst_unused:UNUSED_PAD src0_sel:WORD_1 src1_sel:DWORD
	v_lshrrev_b32_e32 v18, 16, v5
	v_fma_f16 v17, v64, v17, -v25
	ds_write2_b32 v56, v15, v6 offset1:75
	v_pack_b32_f16 v6, v8, v16
	v_fmac_f16_e32 v9, v64, v4
	v_mul_f16_sdwa v4, v63, v18 dst_sel:DWORD dst_unused:UNUSED_PAD src0_sel:WORD_1 src1_sel:DWORD
	s_waitcnt vmcnt(9)
	v_lshrrev_b32_e32 v8, 16, v10
	v_mul_f16_sdwa v15, v62, v10 dst_sel:DWORD dst_unused:UNUSED_PAD src0_sel:WORD_1 src1_sel:DWORD
	v_fma_f16 v16, v63, v18, -v19
	v_pack_b32_f16 v9, v9, v17
	v_fmac_f16_e32 v4, v63, v5
	v_mul_f16_sdwa v5, v62, v8 dst_sel:DWORD dst_unused:UNUSED_PAD src0_sel:WORD_1 src1_sel:DWORD
	v_fma_f16 v8, v62, v8, -v15
	s_waitcnt vmcnt(7)
	v_lshrrev_b32_e32 v15, 16, v11
	v_mul_f16_sdwa v17, v61, v11 dst_sel:DWORD dst_unused:UNUSED_PAD src0_sel:WORD_1 src1_sel:DWORD
	ds_write2_b32 v56, v6, v9 offset0:150 offset1:225
	v_fmac_f16_e32 v5, v62, v10
	s_waitcnt vmcnt(6)
	v_lshrrev_b32_e32 v9, 16, v12
	v_pack_b32_f16 v6, v4, v16
	v_mul_f16_sdwa v4, v61, v15 dst_sel:DWORD dst_unused:UNUSED_PAD src0_sel:WORD_1 src1_sel:DWORD
	v_fma_f16 v10, v61, v15, -v17
	v_mul_f16_sdwa v15, v60, v12 dst_sel:DWORD dst_unused:UNUSED_PAD src0_sel:WORD_1 src1_sel:DWORD
	v_pack_b32_f16 v5, v5, v8
	v_mul_f16_sdwa v8, v60, v9 dst_sel:DWORD dst_unused:UNUSED_PAD src0_sel:WORD_1 src1_sel:DWORD
	v_fmac_f16_e32 v4, v61, v11
	s_waitcnt vmcnt(5)
	v_lshrrev_b32_e32 v11, 16, v13
	v_fma_f16 v9, v60, v9, -v15
	s_waitcnt vmcnt(4)
	v_mul_f16_sdwa v15, v59, v13 dst_sel:DWORD dst_unused:UNUSED_PAD src0_sel:WORD_1 src1_sel:DWORD
	v_fmac_f16_e32 v8, v60, v12
	s_waitcnt vmcnt(3)
	v_lshrrev_b32_e32 v12, 16, v3
	s_waitcnt vmcnt(2)
	v_lshrrev_b32_e32 v16, 16, v14
	v_pack_b32_f16 v10, v4, v10
	v_mul_f16_sdwa v4, v59, v11 dst_sel:DWORD dst_unused:UNUSED_PAD src0_sel:WORD_1 src1_sel:DWORD
	v_fma_f16 v11, v59, v11, -v15
	s_waitcnt vmcnt(1)
	v_mul_f16_sdwa v15, v58, v3 dst_sel:DWORD dst_unused:UNUSED_PAD src0_sel:WORD_1 src1_sel:DWORD
	v_pack_b32_f16 v8, v8, v9
	v_mul_f16_sdwa v9, v58, v12 dst_sel:DWORD dst_unused:UNUSED_PAD src0_sel:WORD_1 src1_sel:DWORD
	s_waitcnt vmcnt(0)
	v_mul_f16_sdwa v17, v57, v16 dst_sel:DWORD dst_unused:UNUSED_PAD src0_sel:WORD_1 src1_sel:DWORD
	v_mul_f16_sdwa v18, v57, v14 dst_sel:DWORD dst_unused:UNUSED_PAD src0_sel:WORD_1 src1_sel:DWORD
	v_fmac_f16_e32 v4, v59, v13
	v_fma_f16 v12, v58, v12, -v15
	v_fmac_f16_e32 v9, v58, v3
	v_fmac_f16_e32 v17, v57, v14
	v_fma_f16 v13, v57, v16, -v18
	v_add_nc_u32_e32 v3, 0x600, v56
	v_pack_b32_f16 v11, v4, v11
	v_add_nc_u32_e32 v4, 0x800, v56
	v_pack_b32_f16 v9, v9, v12
	v_pack_b32_f16 v12, v17, v13
	ds_write2_b32 v2, v6, v5 offset0:44 offset1:119
	ds_write2_b32 v3, v10, v8 offset0:66 offset1:141
	ds_write2_b32 v4, v11, v9 offset0:88 offset1:163
	ds_write_b32 v56, v12 offset:3000
	s_and_saveexec_b32 s12, vcc_lo
	s_cbranch_execz .LBB0_3
; %bb.2:
	v_mad_u64_u32 v[0:1], null, 0xfffff524, s0, v[0:1]
	s_mulk_i32 s1, 0xf524
	v_add_nc_u32_e32 v34, 0x200, v56
	s_sub_i32 s0, s1, s0
	v_add_nc_u32_e32 v1, s0, v1
	v_add_co_u32 v5, s0, v0, s2
	v_add_co_ci_u32_e64 v6, s0, s3, v1, s0
	global_load_dword v9, v[0:1], off
	v_add_co_u32 v0, s0, v5, s2
	v_add_co_ci_u32_e64 v1, s0, s3, v6, s0
	s_clause 0x1
	global_load_dword v10, v[22:23], off offset:220
	global_load_dword v11, v[22:23], off offset:520
	global_load_dword v12, v[5:6], off
	global_load_dword v13, v[0:1], off
	v_add_co_u32 v0, s0, v0, s2
	v_add_co_ci_u32_e64 v1, s0, s3, v1, s0
	s_clause 0x4
	global_load_dword v14, v[22:23], off offset:820
	global_load_dword v15, v[22:23], off offset:1120
	;; [unrolled: 1-line block ×5, first 2 shown]
	global_load_dword v19, v[0:1], off
	v_add_co_u32 v0, s0, v0, s2
	v_add_co_ci_u32_e64 v1, s0, s3, v1, s0
	global_load_dword v25, v[20:21], off offset:272
	v_add_co_u32 v5, s0, v0, s2
	v_add_co_ci_u32_e64 v6, s0, s3, v1, s0
	global_load_dword v26, v[0:1], off
	v_add_co_u32 v0, s0, v5, s2
	v_add_co_ci_u32_e64 v1, s0, s3, v6, s0
	global_load_dword v27, v[5:6], off
	;; [unrolled: 3-line block ×4, first 2 shown]
	v_add_co_u32 v5, s0, v0, s2
	v_add_co_ci_u32_e64 v6, s0, s3, v1, s0
	v_add_co_u32 v7, s0, v5, s2
	v_add_co_ci_u32_e64 v8, s0, s3, v6, s0
	global_load_dword v0, v[0:1], off
	global_load_dword v1, v[20:21], off offset:572
	global_load_dword v5, v[5:6], off
	global_load_dword v6, v[7:8], off
	s_clause 0x1
	global_load_dword v7, v[20:21], off offset:872
	global_load_dword v8, v[20:21], off offset:1172
	s_waitcnt vmcnt(21)
	v_lshrrev_b32_e32 v30, 16, v9
	s_waitcnt vmcnt(20)
	v_mul_f16_sdwa v31, v10, v9 dst_sel:DWORD dst_unused:UNUSED_PAD src0_sel:WORD_1 src1_sel:DWORD
	s_waitcnt vmcnt(18)
	v_lshrrev_b32_e32 v33, 16, v12
	v_mul_f16_sdwa v32, v10, v30 dst_sel:DWORD dst_unused:UNUSED_PAD src0_sel:WORD_1 src1_sel:DWORD
	v_mul_f16_sdwa v35, v11, v12 dst_sel:DWORD dst_unused:UNUSED_PAD src0_sel:WORD_1 src1_sel:DWORD
	v_fma_f16 v30, v10, v30, -v31
	v_fmac_f16_e32 v32, v10, v9
	v_mul_f16_sdwa v9, v11, v33 dst_sel:DWORD dst_unused:UNUSED_PAD src0_sel:WORD_1 src1_sel:DWORD
	s_waitcnt vmcnt(17)
	v_lshrrev_b32_e32 v10, 16, v13
	v_fma_f16 v31, v11, v33, -v35
	s_waitcnt vmcnt(16)
	v_mul_f16_sdwa v33, v14, v13 dst_sel:DWORD dst_unused:UNUSED_PAD src0_sel:WORD_1 src1_sel:DWORD
	v_pack_b32_f16 v30, v32, v30
	v_fmac_f16_e32 v9, v11, v12
	v_mul_f16_sdwa v11, v14, v10 dst_sel:DWORD dst_unused:UNUSED_PAD src0_sel:WORD_1 src1_sel:DWORD
	s_waitcnt vmcnt(11)
	v_lshrrev_b32_e32 v12, 16, v19
	v_mul_f16_sdwa v32, v15, v19 dst_sel:DWORD dst_unused:UNUSED_PAD src0_sel:WORD_1 src1_sel:DWORD
	v_fma_f16 v10, v14, v10, -v33
	v_pack_b32_f16 v9, v9, v31
	v_fmac_f16_e32 v11, v14, v13
	v_mul_f16_sdwa v13, v15, v12 dst_sel:DWORD dst_unused:UNUSED_PAD src0_sel:WORD_1 src1_sel:DWORD
	s_waitcnt vmcnt(9)
	v_lshrrev_b32_e32 v14, 16, v26
	v_fma_f16 v12, v15, v12, -v32
	v_mul_f16_sdwa v31, v16, v26 dst_sel:DWORD dst_unused:UNUSED_PAD src0_sel:WORD_1 src1_sel:DWORD
	ds_write2_b32 v56, v30, v9 offset0:55 offset1:130
	v_pack_b32_f16 v9, v11, v10
	v_fmac_f16_e32 v13, v15, v19
	v_mul_f16_sdwa v10, v16, v14 dst_sel:DWORD dst_unused:UNUSED_PAD src0_sel:WORD_1 src1_sel:DWORD
	s_waitcnt vmcnt(8)
	v_lshrrev_b32_e32 v11, 16, v27
	v_mul_f16_sdwa v15, v17, v27 dst_sel:DWORD dst_unused:UNUSED_PAD src0_sel:WORD_1 src1_sel:DWORD
	v_fma_f16 v14, v16, v14, -v31
	v_pack_b32_f16 v12, v13, v12
	v_fmac_f16_e32 v10, v16, v26
	v_mul_f16_sdwa v13, v17, v11 dst_sel:DWORD dst_unused:UNUSED_PAD src0_sel:WORD_1 src1_sel:DWORD
	v_fma_f16 v11, v17, v11, -v15
	s_waitcnt vmcnt(7)
	v_lshrrev_b32_e32 v15, 16, v28
	v_mul_f16_sdwa v16, v18, v28 dst_sel:DWORD dst_unused:UNUSED_PAD src0_sel:WORD_1 src1_sel:DWORD
	v_pack_b32_f16 v10, v10, v14
	v_fmac_f16_e32 v13, v17, v27
	s_waitcnt vmcnt(6)
	v_lshrrev_b32_e32 v14, 16, v29
	v_mul_f16_sdwa v17, v18, v15 dst_sel:DWORD dst_unused:UNUSED_PAD src0_sel:WORD_1 src1_sel:DWORD
	v_mul_f16_sdwa v19, v25, v29 dst_sel:DWORD dst_unused:UNUSED_PAD src0_sel:WORD_1 src1_sel:DWORD
	v_fma_f16 v15, v18, v15, -v16
	v_pack_b32_f16 v11, v13, v11
	v_mul_f16_sdwa v13, v25, v14 dst_sel:DWORD dst_unused:UNUSED_PAD src0_sel:WORD_1 src1_sel:DWORD
	v_fmac_f16_e32 v17, v18, v28
	v_fma_f16 v14, v25, v14, -v19
	s_waitcnt vmcnt(5)
	v_lshrrev_b32_e32 v16, 16, v0
	s_waitcnt vmcnt(4)
	v_mul_f16_sdwa v18, v1, v0 dst_sel:DWORD dst_unused:UNUSED_PAD src0_sel:WORD_1 src1_sel:DWORD
	s_waitcnt vmcnt(3)
	v_lshrrev_b32_e32 v19, 16, v5
	v_fmac_f16_e32 v13, v25, v29
	s_waitcnt vmcnt(2)
	v_lshrrev_b32_e32 v25, 16, v6
	v_mul_f16_sdwa v26, v1, v16 dst_sel:DWORD dst_unused:UNUSED_PAD src0_sel:WORD_1 src1_sel:DWORD
	v_fma_f16 v16, v1, v16, -v18
	s_waitcnt vmcnt(1)
	v_mul_f16_sdwa v18, v7, v5 dst_sel:DWORD dst_unused:UNUSED_PAD src0_sel:WORD_1 src1_sel:DWORD
	v_mul_f16_sdwa v27, v7, v19 dst_sel:DWORD dst_unused:UNUSED_PAD src0_sel:WORD_1 src1_sel:DWORD
	s_waitcnt vmcnt(0)
	v_mul_f16_sdwa v28, v8, v25 dst_sel:DWORD dst_unused:UNUSED_PAD src0_sel:WORD_1 src1_sel:DWORD
	v_mul_f16_sdwa v29, v8, v6 dst_sel:DWORD dst_unused:UNUSED_PAD src0_sel:WORD_1 src1_sel:DWORD
	v_fmac_f16_e32 v26, v1, v0
	v_fma_f16 v0, v7, v19, -v18
	v_fmac_f16_e32 v27, v7, v5
	v_fmac_f16_e32 v28, v8, v6
	v_fma_f16 v1, v8, v25, -v29
	v_pack_b32_f16 v5, v17, v15
	v_pack_b32_f16 v6, v13, v14
	v_pack_b32_f16 v7, v26, v16
	v_pack_b32_f16 v0, v27, v0
	v_pack_b32_f16 v1, v28, v1
	ds_write2_b32 v34, v9, v12 offset0:77 offset1:152
	ds_write2_b32 v2, v10, v11 offset0:99 offset1:174
	;; [unrolled: 1-line block ×4, first 2 shown]
	ds_write_b32 v56, v1 offset:3220
.LBB0_3:
	s_or_b32 exec_lo, exec_lo, s12
	s_waitcnt lgkmcnt(0)
	s_barrier
	buffer_gl0_inv
	ds_read2_b32 v[10:11], v56 offset1:75
	ds_read2_b32 v[12:13], v56 offset0:150 offset1:225
	ds_read2_b32 v[16:17], v2 offset0:44 offset1:119
	;; [unrolled: 1-line block ×4, first 2 shown]
	ds_read_b32 v52, v56 offset:3000
	s_load_dwordx2 s[2:3], s[4:5], 0x8
	v_mov_b32_e32 v2, 0
                                        ; implicit-def: $vgpr4
                                        ; implicit-def: $vgpr7
                                        ; implicit-def: $vgpr0
                                        ; implicit-def: $vgpr9
                                        ; implicit-def: $vgpr27
	s_and_saveexec_b32 s0, vcc_lo
	s_cbranch_execz .LBB0_5
; %bb.4:
	v_add_nc_u32_e32 v0, 0x200, v56
	v_add_nc_u32_e32 v1, 0x400, v56
	;; [unrolled: 1-line block ×4, first 2 shown]
	ds_read2_b32 v[2:3], v56 offset0:55 offset1:130
	ds_read2_b32 v[8:9], v0 offset0:77 offset1:152
	;; [unrolled: 1-line block ×5, first 2 shown]
	ds_read_b32 v27, v56 offset:3220
.LBB0_5:
	s_or_b32 exec_lo, exec_lo, s0
	s_waitcnt lgkmcnt(0)
	v_pk_add_f16 v48, v3, v27 neg_lo:[0,1] neg_hi:[0,1]
	v_mov_b32_e32 v30, 0xbbeb
	v_pk_add_f16 v25, v10, v11
	v_pk_add_f16 v36, v27, v3
	v_mov_b32_e32 v54, 0xbb47
	v_pk_add_f16 v51, v8, v1 neg_lo:[0,1] neg_hi:[0,1]
	v_mov_b32_e32 v31, 0x3482
	v_mul_f16_sdwa v39, v48, v30 dst_sel:DWORD dst_unused:UNUSED_PAD src0_sel:WORD_1 src1_sel:DWORD
	v_mov_b32_e32 v29, 0xba0c
	v_mul_f16_sdwa v35, v48, v54 dst_sel:DWORD dst_unused:UNUSED_PAD src0_sel:WORD_1 src1_sel:DWORD
	v_pk_add_f16 v41, v1, v8
	v_mul_f16_sdwa v38, v51, v31 dst_sel:DWORD dst_unused:UNUSED_PAD src0_sel:WORD_1 src1_sel:DWORD
	v_fmamk_f16 v44, v36, 0xb08e, v39
	v_pk_add_f16 v49, v9, v0 neg_lo:[0,1] neg_hi:[0,1]
	v_mov_b32_e32 v28, 0x3b47
	v_pk_add_f16 v25, v25, v12
	v_mul_f16_sdwa v33, v51, v29 dst_sel:DWORD dst_unused:UNUSED_PAD src0_sel:WORD_1 src1_sel:DWORD
	v_mov_b32_e32 v50, 0xb853
	v_fmamk_f16 v26, v36, 0x36a6, v35
	v_fmamk_f16 v69, v41, 0xbbad, v38
	v_pk_add_f16 v32, v6, v5 neg_lo:[0,1] neg_hi:[0,1]
	v_pk_add_f16 v43, v0, v9
	v_mul_f16_sdwa v40, v49, v28 dst_sel:DWORD dst_unused:UNUSED_PAD src0_sel:WORD_1 src1_sel:DWORD
	v_pk_add_f16 v25, v25, v13
	v_add_f16_e32 v44, v44, v2
	v_fmamk_f16 v46, v41, 0xb93d, v33
	v_mov_b32_e32 v55, 0x3beb
	v_mul_f16_sdwa v37, v49, v31 dst_sel:DWORD dst_unused:UNUSED_PAD src0_sel:WORD_1 src1_sel:DWORD
	v_pk_add_f16 v42, v5, v6
	v_mul_f16_sdwa v45, v32, v50 dst_sel:DWORD dst_unused:UNUSED_PAD src0_sel:WORD_1 src1_sel:DWORD
	v_fmamk_f16 v71, v43, 0x36a6, v40
	v_pk_add_f16 v53, v7, v4 neg_lo:[0,1] neg_hi:[0,1]
	v_add_f16_e32 v26, v26, v2
	v_pk_add_f16 v25, v25, v16
	v_add_f16_e32 v69, v69, v44
	v_mul_f16_sdwa v34, v32, v55 dst_sel:DWORD dst_unused:UNUSED_PAD src0_sel:WORD_1 src1_sel:DWORD
	v_fmamk_f16 v70, v43, 0xbbad, v37
	v_fmamk_f16 v73, v42, 0x3abb, v45
	v_pk_add_f16 v47, v4, v7
	v_add_f16_e32 v26, v46, v26
	v_pk_add_f16 v25, v25, v17
	v_mul_f16_sdwa v46, v53, v29 dst_sel:DWORD dst_unused:UNUSED_PAD src0_sel:WORD_1 src1_sel:DWORD
	v_add_f16_e32 v69, v71, v69
	v_fmamk_f16 v72, v42, 0xb08e, v34
	v_add_f16_e32 v26, v70, v26
	v_pk_add_f16 v25, v25, v18
	v_fmamk_f16 v71, v47, 0xb93d, v46
	v_add_f16_e32 v69, v73, v69
	v_mov_b32_e32 v74, 0x3853
	v_add_f16_e32 v26, v72, v26
	v_pk_add_f16 v72, v25, v19
	v_pk_add_f16 v73, v11, v52 neg_lo:[0,1] neg_hi:[0,1]
	v_add_f16_e32 v25, v71, v69
	v_pk_add_f16 v71, v52, v11
	v_pk_add_f16 v11, v19, v16
	;; [unrolled: 1-line block ×3, first 2 shown]
	v_pk_add_f16 v77, v16, v19 neg_lo:[0,1] neg_hi:[0,1]
	v_pk_add_f16 v16, v18, v17
	v_pk_add_f16 v78, v17, v18 neg_lo:[0,1] neg_hi:[0,1]
	v_pk_add_f16 v17, v15, v12
	v_pk_mul_f16 v19, 0x3abb36a6, v71
	v_mul_f16_sdwa v44, v53, v74 dst_sel:DWORD dst_unused:UNUSED_PAD src0_sel:WORD_1 src1_sel:DWORD
	v_mul_f16_sdwa v72, v73, v50 dst_sel:DWORD dst_unused:UNUSED_PAD src0_sel:WORD_1 src1_sel:DWORD
	v_pk_add_f16 v76, v12, v15 neg_lo:[0,1] neg_hi:[0,1]
	v_pk_add_f16 v12, v14, v13
	v_pk_add_f16 v80, v69, v15
	v_pk_fma_f16 v81, 0xbb47b853, v73, v19 op_sel:[0,0,1] op_sel_hi:[1,1,0] neg_lo:[0,1,0] neg_hi:[0,1,0]
	v_pk_mul_f16 v15, 0x36a6b93d, v17
	v_pk_fma_f16 v82, 0xbb47b853, v73, v19 op_sel:[0,0,1] op_sel_hi:[1,1,0]
	v_lshrrev_b32_e32 v83, 16, v71
	v_mul_f16_e32 v84, 0xbb47, v73
	v_fmamk_f16 v70, v47, 0x3abb, v44
	v_fma_f16 v18, v71, 0x3abb, -v72
	v_pk_add_f16 v79, v13, v14 neg_lo:[0,1] neg_hi:[0,1]
	v_mul_f16_sdwa v13, v76, v54 dst_sel:DWORD dst_unused:UNUSED_PAD src0_sel:WORD_1 src1_sel:DWORD
	v_pk_fma_f16 v14, 0xba0cbb47, v76, v15 op_sel:[0,0,1] op_sel_hi:[1,1,0] neg_lo:[0,1,0] neg_hi:[0,1,0]
	v_bfi_b32 v69, 0xffff, v82, v81
	v_pk_fma_f16 v85, 0xba0cbb47, v76, v15 op_sel:[0,0,1] op_sel_hi:[1,1,0]
	v_fmamk_f16 v15, v83, 0x36a6, v84
	v_lshrrev_b32_e32 v86, 16, v17
	v_mul_f16_e32 v87, 0xba0c, v76
	v_pk_mul_f16 v74, 0xb08ebbad, v12
	v_add_f16_e32 v26, v70, v26
	v_add_f16_e32 v18, v10, v18
	v_fma_f16 v19, v17, 0x36a6, -v13
	v_pk_add_f16 v70, v10, v69 op_sel:[1,0] op_sel_hi:[0,1]
	v_bfi_b32 v75, 0xffff, v85, v14
	v_add_f16_sdwa v88, v10, v15 dst_sel:DWORD dst_unused:UNUSED_PAD src0_sel:WORD_1 src1_sel:DWORD
	v_fmamk_f16 v89, v86, 0xb93d, v87
	v_mul_f16_sdwa v69, v79, v30 dst_sel:DWORD dst_unused:UNUSED_PAD src0_sel:WORD_1 src1_sel:DWORD
	v_pk_fma_f16 v15, 0x3482bbeb, v79, v74 op_sel:[0,0,1] op_sel_hi:[1,1,0] neg_lo:[0,1,0] neg_hi:[0,1,0]
	v_pk_fma_f16 v90, 0x3482bbeb, v79, v74 op_sel:[0,0,1] op_sel_hi:[1,1,0]
	v_add_f16_e32 v19, v19, v18
	v_pk_add_f16 v70, v75, v70
	v_add_f16_e32 v74, v89, v88
	v_fma_f16 v75, v12, 0xb08e, -v69
	v_bfi_b32 v88, 0xffff, v90, v15
	v_lshrrev_b32_e32 v89, 16, v12
	v_mul_f16_e32 v91, 0x3482, v79
	v_pk_mul_f16 v92, 0xb93db08e, v11
	v_mul_f16_sdwa v18, v77, v29 dst_sel:DWORD dst_unused:UNUSED_PAD src0_sel:WORD_1 src1_sel:DWORD
	v_add_f16_e32 v75, v75, v19
	v_pk_add_f16 v70, v88, v70
	v_fmamk_f16 v88, v89, 0xbbad, v91
	v_pk_fma_f16 v19, 0x3bebba0c, v77, v92 op_sel:[0,0,1] op_sel_hi:[1,1,0] neg_lo:[0,1,0] neg_hi:[0,1,0]
	v_pk_fma_f16 v92, 0x3bebba0c, v77, v92 op_sel:[0,0,1] op_sel_hi:[1,1,0]
	v_pk_mul_f16 v96, 0xbbad3abb, v16
	v_fma_f16 v93, v11, 0xb93d, -v18
	v_lshrrev_b32_e32 v94, 16, v11
	v_mul_f16_e32 v95, 0x3beb, v77
	v_add_f16_e32 v88, v88, v74
	v_bfi_b32 v97, 0xffff, v92, v19
	v_mov_b32_e32 v99, 0xb482
	v_pk_fma_f16 v74, 0x3853b482, v78, v96 op_sel:[0,0,1] op_sel_hi:[1,1,0] neg_lo:[0,1,0] neg_hi:[0,1,0]
	v_pk_fma_f16 v100, 0x3853b482, v78, v96 op_sel:[0,0,1] op_sel_hi:[1,1,0]
	v_add_f16_e32 v93, v93, v75
	v_fmamk_f16 v98, v94, 0xb08e, v95
	v_lshrrev_b32_e32 v101, 16, v16
	v_mul_f16_e32 v102, 0x3853, v78
	v_mul_f16_sdwa v75, v78, v99 dst_sel:DWORD dst_unused:UNUSED_PAD src0_sel:WORD_1 src1_sel:DWORD
	v_pk_add_f16 v70, v97, v70
	v_bfi_b32 v97, 0xffff, v100, v74
	v_add_f16_e32 v88, v98, v88
	v_fmamk_f16 v98, v101, 0x3abb, v102
	v_fma_f16 v100, v16, 0xbbad, -v75
	v_mul_f16_sdwa v103, v73, v30 dst_sel:DWORD dst_unused:UNUSED_PAD src0_sel:WORD_1 src1_sel:DWORD
	v_pk_add_f16 v70, v97, v70
	v_mul_f16_e32 v97, 0xbbeb, v73
	v_add_f16_e32 v88, v98, v88
	v_add_f16_e32 v93, v100, v93
	v_fma_f16 v98, v71, 0xb08e, -v103
	v_mul_f16_sdwa v100, v76, v31 dst_sel:DWORD dst_unused:UNUSED_PAD src0_sel:WORD_1 src1_sel:DWORD
	v_fmamk_f16 v31, v83, 0xb08e, v97
	v_mul_f16_e32 v104, 0x3482, v76
	v_mul_f16_sdwa v105, v73, v29 dst_sel:DWORD dst_unused:UNUSED_PAD src0_sel:WORD_1 src1_sel:DWORD
	v_add_f16_e32 v98, v10, v98
	v_fma_f16 v106, v17, 0xbbad, -v100
	v_add_f16_sdwa v31, v10, v31 dst_sel:DWORD dst_unused:UNUSED_PAD src0_sel:WORD_1 src1_sel:DWORD
	v_fmamk_f16 v107, v86, 0xbbad, v104
	v_fma_f16 v108, v71, 0xb93d, -v105
	v_mul_f16_e32 v110, 0xba0c, v73
	v_add_f16_e32 v98, v106, v98
	v_mul_f16_e32 v111, 0x3beb, v76
	v_add_f16_e32 v31, v107, v31
	v_add_f16_e32 v106, v10, v108
	v_mul_f16_sdwa v107, v76, v55 dst_sel:DWORD dst_unused:UNUSED_PAD src0_sel:WORD_1 src1_sel:DWORD
	v_fmamk_f16 v108, v83, 0xb93d, v110
	v_mul_f16_sdwa v112, v79, v28 dst_sel:DWORD dst_unused:UNUSED_PAD src0_sel:WORD_1 src1_sel:DWORD
	v_mul_f16_e32 v113, 0x3b47, v79
	v_fmamk_f16 v115, v86, 0xb08e, v111
	v_fma_f16 v114, v17, 0xb08e, -v107
	v_add_f16_sdwa v108, v10, v108 dst_sel:DWORD dst_unused:UNUSED_PAD src0_sel:WORD_1 src1_sel:DWORD
	v_fma_f16 v116, v12, 0x36a6, -v112
	v_fmamk_f16 v117, v89, 0x36a6, v113
	v_mul_f16_sdwa v118, v79, v50 dst_sel:DWORD dst_unused:UNUSED_PAD src0_sel:WORD_1 src1_sel:DWORD
	v_add_f16_e32 v106, v114, v106
	v_add_f16_e32 v108, v115, v108
	;; [unrolled: 1-line block ×4, first 2 shown]
	v_fma_f16 v114, v12, 0x3abb, -v118
	v_mul_f16_e32 v115, 0xb853, v79
	v_mul_f16_sdwa v116, v77, v50 dst_sel:DWORD dst_unused:UNUSED_PAD src0_sel:WORD_1 src1_sel:DWORD
	v_mul_f16_e32 v117, 0xb853, v77
	v_mul_f16_sdwa v119, v77, v99 dst_sel:DWORD dst_unused:UNUSED_PAD src0_sel:WORD_1 src1_sel:DWORD
	v_add_f16_e32 v106, v114, v106
	v_fmamk_f16 v114, v89, 0x3abb, v115
	v_fma_f16 v120, v11, 0x3abb, -v116
	v_fmamk_f16 v121, v94, 0x3abb, v117
	v_fma_f16 v122, v11, 0xbbad, -v119
	v_mul_f16_e32 v123, 0xb482, v77
	v_add_f16_e32 v108, v114, v108
	v_add_f16_e32 v98, v120, v98
	;; [unrolled: 1-line block ×4, first 2 shown]
	v_fmamk_f16 v31, v94, 0xbbad, v123
	v_mul_f16_sdwa v120, v78, v29 dst_sel:DWORD dst_unused:UNUSED_PAD src0_sel:WORD_1 src1_sel:DWORD
	v_mul_f16_sdwa v121, v78, v28 dst_sel:DWORD dst_unused:UNUSED_PAD src0_sel:WORD_1 src1_sel:DWORD
	v_mul_f16_e32 v122, 0x3b47, v78
	v_mul_f16_e32 v124, 0xb93d, v101
	v_add_f16_e32 v108, v31, v108
	v_fma_f16 v125, v16, 0xb93d, -v120
	v_fma_f16 v126, v16, 0x36a6, -v121
	v_fmamk_f16 v127, v101, 0x36a6, v122
	v_fmamk_f16 v128, v78, 0xba0c, v124
	v_mul_lo_u16 v109, v65, 11
	v_mov_b32_e32 v31, 2
	v_add_f16_e32 v98, v125, v98
	v_add_f16_e32 v106, v126, v106
	v_add_f16_e32 v108, v127, v108
	v_add_f16_e32 v114, v128, v114
	v_alignbit_b32 v88, v88, v70, 16
	v_pack_b32_f16 v93, v93, v70
	v_lshlrev_b32_sdwa v70, v31, v109 dst_sel:DWORD dst_unused:UNUSED_PAD src0_sel:DWORD src1_sel:WORD_0
	v_pack_b32_f16 v106, v106, v108
	v_pack_b32_f16 v98, v98, v114
	s_barrier
	buffer_gl0_inv
	ds_write2_b32 v70, v93, v88 offset0:1 offset1:2
	ds_write2_b32 v70, v98, v106 offset0:3 offset1:4
	v_fma_f16 v84, v83, 0x36a6, -v84
	v_pk_mul_f16 v93, 0xbbad, v71 op_sel_hi:[0,1]
	v_fmac_f16_e32 v72, 0x3abb, v71
	v_alignbit_b32 v82, s0, v82, 16
	v_fmac_f16_e32 v103, 0xb08e, v71
	v_fmac_f16_e32 v105, 0xb93d, v71
	v_pk_fma_f16 v71, 0xb482, v73, v93 op_sel:[0,0,1] op_sel_hi:[0,1,0] neg_lo:[0,1,0] neg_hi:[0,1,0]
	v_add_f16_e32 v98, v10, v72
	v_pk_add_f16 v72, v10, v82
	v_add_f16_sdwa v82, v10, v84 dst_sel:DWORD dst_unused:UNUSED_PAD src0_sel:WORD_1 src1_sel:DWORD
	v_pk_mul_f16 v84, 0x3abb, v17 op_sel_hi:[0,1]
	v_fma_f16 v88, v83, 0xb08e, -v97
	v_pk_fma_f16 v73, 0xb482, v73, v93 op_sel:[0,0,1] op_sel_hi:[0,1,0]
	v_alignbit_b32 v93, s0, v71, 16
	v_add_f16_e32 v97, v10, v103
	v_add_f16_e32 v103, v10, v105
	v_pk_fma_f16 v105, 0x3853, v76, v84 op_sel:[0,0,1] op_sel_hi:[0,1,0] neg_lo:[0,1,0] neg_hi:[0,1,0]
	v_pk_mul_f16 v106, 0xb93d, v12 op_sel_hi:[0,1]
	v_alignbit_b32 v108, s0, v10, 16
	v_pk_add_f16 v93, v10, v93
	v_pk_add_f16 v73, v10, v73 op_sel:[1,0] op_sel_hi:[0,1]
	v_alignbit_b32 v109, s0, v105, 16
	v_pk_fma_f16 v76, 0x3853, v76, v84 op_sel:[0,0,1] op_sel_hi:[0,1,0]
	v_pk_fma_f16 v84, 0xba0c, v79, v106 op_sel:[0,0,1] op_sel_hi:[0,1,0] neg_lo:[0,1,0] neg_hi:[0,1,0]
	v_pk_add_f16 v71, v108, v71
	v_pk_mul_f16 v108, 0x36a6, v11 op_sel_hi:[0,1]
	v_pk_add_f16 v93, v109, v93
	v_pk_add_f16 v73, v76, v73
	v_alignbit_b32 v76, s0, v84, 16
	v_pk_fma_f16 v79, 0xba0c, v79, v106 op_sel:[0,0,1] op_sel_hi:[0,1,0]
	v_pk_fma_f16 v106, 0x3b47, v77, v108 op_sel:[0,0,1] op_sel_hi:[0,1,0] neg_lo:[0,1,0] neg_hi:[0,1,0]
	v_fma_f16 v83, v83, 0xb93d, -v110
	v_pk_add_f16 v71, v105, v71
	v_pk_add_f16 v76, v76, v93
	;; [unrolled: 1-line block ×3, first 2 shown]
	v_alignbit_b32 v79, s0, v106, 16
	v_pk_fma_f16 v77, 0x3b47, v77, v108 op_sel:[0,0,1] op_sel_hi:[0,1,0]
	v_pk_mul_f16 v93, 0xb08e, v16 op_sel_hi:[0,1]
	v_add_f16_sdwa v88, v10, v88 dst_sel:DWORD dst_unused:UNUSED_PAD src0_sel:WORD_1 src1_sel:DWORD
	v_add_f16_sdwa v83, v10, v83 dst_sel:DWORD dst_unused:UNUSED_PAD src0_sel:WORD_1 src1_sel:DWORD
	;; [unrolled: 1-line block ×3, first 2 shown]
	v_pk_add_f16 v10, v84, v71
	v_pk_add_f16 v71, v79, v76
	;; [unrolled: 1-line block ×3, first 2 shown]
	v_pk_fma_f16 v76, 0xbbeb, v78, v93 op_sel:[0,0,1] op_sel_hi:[0,1,0]
	v_pk_fma_f16 v77, 0xbbeb, v78, v93 op_sel:[0,0,1] op_sel_hi:[0,1,0] neg_lo:[0,1,0] neg_hi:[0,1,0]
	v_fmac_f16_e32 v107, 0xb08e, v17
	v_fma_f16 v79, v86, 0xb08e, -v111
	v_pk_add_f16 v10, v106, v10
	v_pk_add_f16 v73, v76, v73
	v_alignbit_b32 v76, s0, v77, 16
	v_add_f16_e32 v81, v107, v103
	v_fmac_f16_e32 v118, 0x3abb, v12
	v_add_f16_e32 v79, v79, v83
	v_fma_f16 v83, v89, 0x3abb, -v115
	v_pk_add_f16 v10, v77, v10
	v_pk_add_f16 v71, v76, v71
	v_add_f16_e32 v76, v118, v81
	v_fmac_f16_e32 v119, 0xbbad, v11
	v_add_f16_e32 v77, v83, v79
	v_fma_f16 v79, v94, 0xbbad, -v123
	v_alignbit_b32 v103, v10, v73, 16
	v_pack_b32_f16 v106, v71, v73
	v_add_f16_e32 v10, v119, v76
	v_fma_f16 v73, v101, 0x36a6, -v122
	v_add_f16_e32 v71, v79, v77
	v_alignbit_b32 v76, s0, v85, 16
	v_fma_f16 v77, v86, 0xb93d, -v87
	v_fma_f16 v79, v86, 0xbbad, -v104
	;; [unrolled: 1-line block ×3, first 2 shown]
	v_add_f16_e32 v71, v73, v71
	v_pk_add_f16 v72, v76, v72
	v_add_f16_e32 v73, v77, v82
	v_alignbit_b32 v77, s0, v90, 16
	v_add_f16_e32 v76, v79, v88
	v_fmac_f16_e32 v100, 0xbbad, v17
	v_fma_f16 v79, v89, 0xbbad, -v91
	v_pk_add_f16 v104, v80, v52
	v_pk_add_f16 v72, v77, v72
	v_add_f16_e32 v76, v81, v76
	v_fma_f16 v77, v94, 0x3abb, -v117
	v_pk_mul_f16 v80, 0x3853b482, v78
	v_mul_f16_e32 v78, 0xba0c, v78
	v_lshlrev_b32_e32 v72, 16, v72
	v_fmac_f16_e32 v121, 0x36a6, v16
	v_add_f16_e32 v52, v100, v97
	v_add_f16_e32 v73, v79, v73
	v_fma_f16 v79, v94, 0xb08e, -v95
	v_fmac_f16_e32 v112, 0x36a6, v12
	v_pack_b32_f16 v77, v77, v96
	v_bfi_b32 v76, 0xffff, v76, v80
	v_pk_add_f16 v78, v124, v78 neg_lo:[0,1] neg_hi:[0,1]
	v_pk_add_f16 v72, v92, v72
	v_add_f16_e32 v10, v121, v10
	v_add_f16_e32 v52, v112, v52
	;; [unrolled: 1-line block ×3, first 2 shown]
	v_fmac_f16_e32 v116, 0x3abb, v11
	v_fma_f16 v79, v101, 0x3abb, -v102
	v_pk_add_f16 v76, v77, v76
	v_bfi_b32 v72, 0xffff, v78, v72
	v_pack_b32_f16 v100, v10, v71
	v_add_f16_e32 v52, v116, v52
	v_add_f16_e32 v71, v79, v73
	v_fmac_f16_e32 v120, 0xb93d, v16
	v_pk_add_f16 v72, v72, v76
	v_mul_f16_sdwa v10, v48, v50 dst_sel:DWORD dst_unused:UNUSED_PAD src0_sel:WORD_1 src1_sel:DWORD
	v_lshrrev_b32_e32 v83, 16, v36
	v_mul_f16_e32 v78, 0xbb47, v48
	v_add_f16_e32 v73, v120, v52
	v_alignbit_b32 v101, v71, v72, 16
	v_mul_f16_sdwa v52, v51, v54 dst_sel:DWORD dst_unused:UNUSED_PAD src0_sel:WORD_1 src1_sel:DWORD
	v_fmamk_f16 v71, v36, 0x3abb, v10
	v_fma_f16 v76, v83, 0x36a6, -v78
	v_lshrrev_b32_e32 v84, 16, v41
	v_mul_f16_e32 v54, 0xba0c, v51
	v_fmamk_f16 v77, v41, 0x36a6, v52
	v_add_f16_e32 v71, v71, v2
	v_add_f16_sdwa v76, v76, v2 dst_sel:DWORD dst_unused:UNUSED_PAD src0_sel:DWORD src1_sel:WORD_1
	v_pack_b32_f16 v102, v73, v72
	v_fma_f16 v79, v84, 0xb93d, -v54
	v_mul_f16_sdwa v73, v48, v29 dst_sel:DWORD dst_unused:UNUSED_PAD src0_sel:WORD_1 src1_sel:DWORD
	v_mul_f16_e32 v81, 0xbbeb, v48
	v_add_f16_e32 v71, v77, v71
	v_mul_f16_e32 v77, 0xba0c, v48
	v_add_f16_e32 v76, v79, v76
	v_fma_f16 v79, v36, 0xb93d, -v73
	v_mul_f16_sdwa v55, v51, v55 dst_sel:DWORD dst_unused:UNUSED_PAD src0_sel:WORD_1 src1_sel:DWORD
	v_fma_f16 v72, v83, 0xb08e, -v81
	v_mul_f16_e32 v82, 0x3482, v51
	v_fmamk_f16 v80, v83, 0xb93d, v77
	v_mul_f16_e32 v87, 0x3beb, v51
	v_add_f16_e32 v79, v79, v2
	v_fma_f16 v86, v41, 0xb08e, -v55
	v_add_f16_sdwa v72, v72, v2 dst_sel:DWORD dst_unused:UNUSED_PAD src0_sel:DWORD src1_sel:WORD_1
	v_fma_f16 v85, v84, 0xbbad, -v82
	v_add_f16_sdwa v80, v80, v2 dst_sel:DWORD dst_unused:UNUSED_PAD src0_sel:DWORD src1_sel:WORD_1
	v_fmamk_f16 v88, v84, 0xb08e, v87
	v_add_f16_e32 v79, v86, v79
	v_pk_mul_f16 v86, 0xb482b853, v48
	v_add_f16_e32 v72, v85, v72
	v_fmac_f16_e32 v73, 0xb93d, v36
	v_add_f16_e32 v80, v88, v80
	v_fma_f16 v77, v83, 0xb93d, -v77
	v_pk_fma_f16 v88, 0x3abbbbad, v36, v86 op_sel:[0,0,1] op_sel_hi:[1,1,0] neg_lo:[0,0,1] neg_hi:[0,0,1]
	v_pk_mul_f16 v85, 0x3853bb47, v51
	v_mul_f16_e32 v89, 0xb482, v48
	v_fmac_f16_e32 v55, 0xb08e, v41
	v_add_f16_e32 v73, v73, v2
	v_fma_f16 v48, v84, 0xb08e, -v87
	v_add_f16_sdwa v77, v77, v2 dst_sel:DWORD dst_unused:UNUSED_PAD src0_sel:DWORD src1_sel:WORD_1
	v_pk_add_f16 v87, v88, v2
	v_pk_fma_f16 v88, 0x36a63abb, v41, v85 op_sel:[0,0,1] op_sel_hi:[1,1,0] neg_lo:[0,0,1] neg_hi:[0,0,1]
	v_fma_f16 v90, v83, 0xbbad, -v89
	v_mul_f16_e32 v91, 0x3853, v51
	v_add_f16_e32 v55, v55, v73
	v_add_f16_e32 v73, v48, v77
	v_pk_add_f16 v77, v88, v87
	v_add_f16_sdwa v87, v90, v2 dst_sel:DWORD dst_unused:UNUSED_PAD src0_sel:DWORD src1_sel:WORD_1
	v_fma_f16 v90, v84, 0x3abb, -v91
	v_mul_f16_sdwa v48, v49, v30 dst_sel:DWORD dst_unused:UNUSED_PAD src0_sel:WORD_1 src1_sel:DWORD
	v_lshrrev_b32_e32 v92, 16, v43
	v_mul_f16_e32 v51, 0x3482, v49
	v_mul_f16_e32 v88, 0x3b47, v49
	v_mul_f16_sdwa v30, v49, v50 dst_sel:DWORD dst_unused:UNUSED_PAD src0_sel:WORD_1 src1_sel:DWORD
	v_fmamk_f16 v50, v43, 0xb08e, v48
	v_add_f16_e32 v87, v90, v87
	v_fma_f16 v90, v92, 0xbbad, -v51
	v_fma_f16 v93, v92, 0x36a6, -v88
	;; [unrolled: 1-line block ×3, first 2 shown]
	v_add_f16_e32 v50, v50, v71
	v_mul_f16_e32 v71, 0xb853, v49
	v_add_f16_e32 v76, v90, v76
	v_pk_mul_f16 v90, 0xba0cbbeb, v49
	v_add_f16_e32 v72, v93, v72
	v_fmac_f16_e32 v30, 0x3abb, v43
	v_fmamk_f16 v93, v92, 0x3abb, v71
	v_fma_f16 v71, v92, 0x3abb, -v71
	v_mul_f16_e32 v107, 0xba0c, v49
	v_pk_fma_f16 v49, 0xb08eb93d, v43, v90 op_sel:[0,0,1] op_sel_hi:[1,1,0] neg_lo:[0,0,1] neg_hi:[0,0,1]
	v_add_f16_e32 v30, v30, v55
	v_add_f16_e32 v80, v93, v80
	;; [unrolled: 1-line block ×3, first 2 shown]
	v_fma_f16 v73, v92, 0xb93d, -v107
	v_pk_add_f16 v77, v49, v77
	v_mul_f16_sdwa v49, v32, v29 dst_sel:DWORD dst_unused:UNUSED_PAD src0_sel:WORD_1 src1_sel:DWORD
	v_lshrrev_b32_e32 v95, 16, v42
	v_mul_f16_e32 v55, 0x3beb, v32
	v_mul_f16_e32 v93, 0xb853, v32
	v_add_f16_e32 v79, v94, v79
	v_add_f16_e32 v29, v73, v87
	v_mul_f16_sdwa v73, v32, v99 dst_sel:DWORD dst_unused:UNUSED_PAD src0_sel:WORD_1 src1_sel:DWORD
	v_fmamk_f16 v87, v42, 0xb93d, v49
	v_fma_f16 v94, v95, 0xb08e, -v55
	v_mul_f16_e32 v96, 0xb482, v32
	v_fma_f16 v97, v95, 0x3abb, -v93
	v_fma_f16 v108, v42, 0xbbad, -v73
	v_add_f16_e32 v109, v87, v50
	v_add_f16_e32 v76, v94, v76
	v_fmamk_f16 v50, v95, 0xbbad, v96
	v_add_f16_e32 v110, v97, v72
	v_pk_mul_f16 v94, 0x3b47ba0c, v32
	v_fmac_f16_e32 v73, 0xbbad, v42
	v_fma_f16 v72, v95, 0xbbad, -v96
	v_add_f16_e32 v108, v108, v79
	v_mul_f16_e32 v32, 0x3b47, v32
	v_add_f16_e32 v79, v50, v80
	v_pk_fma_f16 v80, 0xb93d36a6, v42, v94 op_sel:[0,0,1] op_sel_hi:[1,1,0] neg_lo:[0,0,1] neg_hi:[0,0,1]
	v_mul_f16_sdwa v50, v53, v99 dst_sel:DWORD dst_unused:UNUSED_PAD src0_sel:WORD_1 src1_sel:DWORD
	v_add_f16_e32 v99, v73, v30
	v_add_f16_e32 v30, v72, v71
	v_pk_fma_f16 v72, 0x3abbbbad, v36, v86 op_sel:[0,0,1] op_sel_hi:[1,1,0]
	v_mul_f16_e32 v73, 0x3abb, v84
	v_fma_f16 v87, v95, 0x36a6, -v32
	v_pk_add_f16 v80, v80, v77
	v_fmamk_f16 v77, v83, 0xbbad, v89
	v_pk_mul_f16 v89, 0x36a63abb, v41
	v_lshrrev_b32_e32 v97, 16, v47
	v_pack_b32_f16 v72, v91, v72
	v_perm_b32 v73, v2, v73, 0x5040100
	v_mul_f16_e32 v96, 0xba0c, v53
	v_add_f16_e32 v29, v87, v29
	v_fmamk_f16 v71, v47, 0xbbad, v50
	v_mul_f16_e32 v87, 0x3853, v53
	v_pack_b32_f16 v77, v77, v89
	v_perm_b32 v91, v85, v2, 0x7060302
	v_pk_add_f16 v111, v72, v73
	v_fma_f16 v73, v97, 0xb93d, -v96
	v_add_f16_e32 v71, v71, v109
	v_fma_f16 v109, v97, 0x3abb, -v87
	v_pk_add_f16 v77, v77, v91
	v_pk_mul_f16 v91, 0xb08eb93d, v43
	v_mul_f16_e32 v112, 0xb93d, v92
	v_add_f16_e32 v73, v73, v110
	v_fmac_f16_e32 v13, 0x36a6, v17
	v_pk_mul_f16 v17, 0xb93d36a6, v42
	v_mul_f16_e32 v110, 0x36a6, v95
	v_add_f16_e32 v72, v109, v76
	v_pack_b32_f16 v76, v107, v91
	v_bfi_b32 v107, 0xffff, v112, v90
	v_mul_f16_e32 v109, 0x3b47, v53
	v_add_f16_e32 v13, v13, v98
	v_pack_b32_f16 v32, v32, v17
	v_bfi_b32 v98, 0xffff, v110, v94
	v_fmac_f16_e32 v69, 0xb08e, v12
	v_pk_add_f16 v77, v77, v111
	v_pk_add_f16 v107, v76, v107
	v_fmamk_f16 v76, v97, 0x36a6, v109
	v_add_f16_e32 v14, v14, v105
	v_pk_add_f16 v32, v32, v98
	v_add_f16_e32 v69, v69, v13
	v_pk_mul_f16 v13, 0xbbebb482, v53
	v_mul_f16_e32 v98, 0xbbeb, v53
	v_mul_f16_e32 v105, 0xb08e, v97
	v_pk_mul_f16 v12, 0xbbadb08e, v47
	v_add_f16_e32 v76, v76, v79
	v_pk_add_f16 v79, v107, v77
	v_fmac_f16_e32 v18, 0xb93d, v11
	v_add_f16_e32 v11, v15, v14
	v_bfi_b32 v14, 0xffff, v105, v13
	v_pack_b32_f16 v15, v98, v12
	v_fma_f16 v77, v97, 0x36a6, -v109
	v_fmac_f16_e32 v75, 0xbbad, v16
	v_pk_add_f16 v16, v32, v79
	v_mul_f16_sdwa v28, v53, v28 dst_sel:DWORD dst_unused:UNUSED_PAD src0_sel:WORD_1 src1_sel:DWORD
	v_pk_add_f16 v14, v15, v14
	v_pk_fma_f16 v15, 0xbbadb08e, v47, v13 op_sel:[0,0,1] op_sel_hi:[1,1,0] neg_lo:[0,0,1] neg_hi:[0,0,1]
	v_add_f16_e32 v18, v18, v69
	v_add_f16_e32 v11, v19, v11
	;; [unrolled: 1-line block ×3, first 2 shown]
	v_fma_f16 v19, v97, 0xb08e, -v98
	v_pk_add_f16 v30, v15, v80
	v_pk_add_f16 v80, v14, v16
	v_fma_f16 v14, v47, 0x36a6, -v28
	v_fmac_f16_e32 v28, 0x36a6, v47
	v_add_co_u32 v32, s0, v65, 55
	v_add_f16_e32 v18, v75, v18
	v_add_f16_e32 v11, v74, v11
	;; [unrolled: 1-line block ×5, first 2 shown]
	v_mul_u32_u24_e32 v69, 11, v32
	v_pack_b32_f16 v11, v18, v11
	v_add_co_ci_u32_e64 v15, null, 0, 0, s0
	ds_write2_b32 v70, v106, v103 offset0:5 offset1:6
	ds_write2_b32 v70, v104, v100 offset1:7
	ds_write2_b32 v70, v102, v101 offset0:8 offset1:9
	ds_write_b32 v70, v11 offset:40
	s_and_saveexec_b32 s0, vcc_lo
	s_cbranch_execz .LBB0_7
; %bb.6:
	v_mul_f16_e32 v16, 0xb08e, v36
	v_mul_f16_e32 v18, 0xb08e, v83
	v_pk_add_f16 v3, v3, v2
	v_mul_f16_e32 v11, 0x3abb, v36
	v_mul_f16_e32 v14, 0x36a6, v36
	;; [unrolled: 1-line block ×6, first 2 shown]
	v_add_f16_e32 v18, v81, v18
	v_pk_mul_f16 v36, 0x3abbbbad, v36
	v_sub_f16_e32 v16, v16, v39
	v_pk_add_f16 v3, v8, v3
	v_mul_f16_e32 v15, 0x36a6, v83
	v_mul_f16_e32 v74, 0xb93d, v84
	;; [unrolled: 1-line block ×7, first 2 shown]
	v_add_f16_sdwa v18, v18, v2 dst_sel:DWORD dst_unused:UNUSED_PAD src0_sel:DWORD src1_sel:WORD_1
	v_add_f16_e32 v75, v82, v75
	v_alignbit_b32 v86, v86, v86, 16
	v_add_f16_e32 v16, v16, v2
	v_sub_f16_e32 v38, v41, v38
	v_bfi_b32 v8, 0xffff, v10, v36
	v_pk_add_f16 v3, v9, v3
	v_mul_f16_e32 v99, 0xb93d, v42
	v_mul_f16_e32 v100, 0xb08e, v42
	;; [unrolled: 1-line block ×5, first 2 shown]
	v_add_f16_e32 v18, v75, v18
	v_add_f16_e32 v39, v88, v92
	v_alignbit_b32 v75, v85, v85, 16
	v_add_f16_e32 v16, v38, v16
	v_sub_f16_e32 v38, v43, v40
	v_pk_add_f16 v8, v11, v8 neg_lo:[0,1] neg_hi:[0,1]
	v_pk_add_f16 v9, v86, v36
	v_bfi_b32 v11, 0xffff, v52, v89
	v_pk_add_f16 v3, v6, v3
	v_mul_f16_e32 v81, 0xbbad, v47
	v_mul_f16_e32 v102, 0x3abb, v47
	;; [unrolled: 1-line block ×4, first 2 shown]
	v_alignbit_b32 v85, v90, v90, 16
	v_add_f16_e32 v18, v39, v18
	v_add_f16_e32 v39, v93, v95
	;; [unrolled: 1-line block ×4, first 2 shown]
	v_sub_f16_e32 v38, v42, v45
	v_sub_f16_e32 v14, v14, v35
	v_bfi_b32 v6, 0xffff, v48, v91
	v_bfi_b32 v8, 0xffff, v8, v9
	v_pk_add_f16 v9, v19, v11 neg_lo:[0,1] neg_hi:[0,1]
	v_pk_add_f16 v11, v75, v89
	v_pk_add_f16 v3, v7, v3
	v_alignbit_b32 v41, v94, v94, 16
	v_add_f16_e32 v18, v39, v18
	v_add_f16_e32 v39, v96, v82
	v_add_f16_sdwa v15, v15, v2 dst_sel:DWORD dst_unused:UNUSED_PAD src0_sel:DWORD src1_sel:WORD_1
	v_add_f16_e32 v40, v54, v74
	v_add_f16_e32 v16, v38, v16
	v_sub_f16_e32 v35, v47, v46
	v_add_f16_e32 v14, v14, v2
	v_sub_f16_e32 v33, v53, v33
	v_pk_add_f16 v6, v83, v6 neg_lo:[0,1] neg_hi:[0,1]
	v_pk_add_f16 v7, v85, v91
	v_bfi_b32 v19, 0xffff, v49, v17
	v_bfi_b32 v9, 0xffff, v9, v11
	v_pk_add_f16 v3, v4, v3
	v_pk_add_f16 v2, v8, v2
	v_alignbit_b32 v13, v13, v13, 16
	v_add_f16_e32 v18, v39, v18
	v_add_f16_e32 v15, v40, v15
	;; [unrolled: 1-line block ×5, first 2 shown]
	v_sub_f16_e32 v16, v84, v37
	v_bfi_b32 v4, 0xffff, v6, v7
	v_pk_add_f16 v6, v99, v19 neg_lo:[0,1] neg_hi:[0,1]
	v_pk_add_f16 v7, v41, v17
	v_pk_add_f16 v3, v5, v3
	;; [unrolled: 1-line block ×3, first 2 shown]
	v_bfi_b32 v5, 0xffff, v50, v12
	v_mul_f16_e32 v103, 0x3abb, v97
	v_add_f16_e32 v15, v39, v15
	v_add_f16_e32 v38, v55, v101
	;; [unrolled: 1-line block ×3, first 2 shown]
	v_bfi_b32 v6, 0xffff, v6, v7
	v_pk_add_f16 v0, v0, v3
	v_pk_add_f16 v2, v4, v2
	v_pk_add_f16 v3, v81, v5 neg_lo:[0,1] neg_hi:[0,1]
	v_pk_add_f16 v4, v13, v12
	v_sub_f16_e32 v5, v100, v34
	v_add_f16_e32 v15, v38, v15
	v_add_f16_e32 v7, v87, v103
	v_pk_add_f16 v0, v1, v0
	v_pk_add_f16 v1, v6, v2
	v_bfi_b32 v2, 0xffff, v3, v4
	v_add_f16_e32 v3, v5, v8
	v_sub_f16_e32 v4, v102, v44
	v_lshlrev_b32_e32 v5, 2, v69
	v_pk_add_f16 v0, v27, v0
	v_pk_add_f16 v1, v2, v1
	v_add_f16_e32 v2, v7, v15
	v_add_f16_e32 v3, v4, v3
	v_alignbit_b32 v4, v79, v80, 16
	v_perm_b32 v6, v73, v25, 0x5040100
	ds_write2_b32 v5, v0, v1 offset1:1
	v_pack_b32_f16 v0, v10, v18
	v_pack_b32_f16 v1, v3, v2
	v_perm_b32 v2, v76, v29, 0x5040100
	v_perm_b32 v3, v80, v30, 0x5040100
	v_perm_b32 v7, v77, v28, 0x5040100
	v_bfi_b32 v8, 0xffff, v71, v30
	v_perm_b32 v9, v72, v26, 0x5040100
	ds_write2_b32 v5, v1, v0 offset0:2 offset1:3
	ds_write_b32 v5, v2 offset:16
	ds_write2_b32 v5, v3, v4 offset0:5 offset1:6
	ds_write2_b32 v5, v7, v6 offset0:7 offset1:8
	;; [unrolled: 1-line block ×3, first 2 shown]
.LBB0_7:
	s_or_b32 exec_lo, exec_lo, s0
	v_and_b32_e32 v0, 0xff, v65
	v_and_b32_e32 v1, 0xff, v32
	v_add_co_u32 v33, null, 0x6e, v65
	s_waitcnt lgkmcnt(0)
	v_mul_lo_u16 v0, 0x75, v0
	v_mul_lo_u16 v1, 0x75, v1
	v_and_b32_e32 v34, 0xff, v33
	s_barrier
	buffer_gl0_inv
	v_lshrrev_b16 v0, 8, v0
	v_lshrrev_b16 v1, 8, v1
	v_add_nc_u32_e32 v27, 0x400, v56
	v_add_nc_u32_e32 v54, 0x800, v56
	;; [unrolled: 1-line block ×3, first 2 shown]
	v_sub_nc_u16 v2, v65, v0
	v_sub_nc_u16 v3, v32, v1
	ds_read2_b32 v[14:15], v56 offset1:55
	ds_read2_b32 v[12:13], v56 offset0:110 offset1:165
	v_mov_b32_e32 v50, 55
	v_lshrrev_b16 v2, 1, v2
	v_lshrrev_b16 v3, 1, v3
	v_lshlrev_b32_e32 v35, 4, v65
	v_and_b32_e32 v2, 0x7f, v2
	v_add_nc_u16 v0, v2, v0
	v_and_b32_e32 v2, 0x7f, v3
	v_lshrrev_b16 v42, 3, v0
	v_mul_lo_u16 v0, 0x75, v34
	v_add_nc_u16 v1, v2, v1
	s_waitcnt lgkmcnt(0)
	v_lshrrev_b32_e32 v52, 16, v13
	v_lshrrev_b32_e32 v51, 16, v14
	v_mul_lo_u16 v2, v42, 11
	v_lshrrev_b16 v0, 8, v0
	v_lshrrev_b16 v43, 3, v1
	v_mul_u32_u24_sdwa v42, v42, v50 dst_sel:DWORD dst_unused:UNUSED_PAD src0_sel:WORD_0 src1_sel:DWORD
	v_lshrrev_b32_e32 v53, 16, v15
	v_sub_nc_u16 v1, v65, v2
	v_sub_nc_u16 v2, v33, v0
	v_mul_lo_u16 v3, v43, 11
	v_mul_u32_u24_sdwa v43, v43, v50 dst_sel:DWORD dst_unused:UNUSED_PAD src0_sel:WORD_0 src1_sel:DWORD
	v_lshrrev_b32_e32 v55, 16, v12
	v_and_b32_e32 v44, 0xff, v1
	v_lshrrev_b16 v1, 1, v2
	v_sub_nc_u16 v2, v32, v3
	v_mul_lo_u16 v34, 0x95, v34
	v_lshlrev_b32_e32 v3, 4, v44
	v_and_b32_e32 v1, 0x7f, v1
	v_and_b32_e32 v45, 0xff, v2
	v_add_lshl_u32 v78, v42, v44, 2
	v_lshrrev_b16 v34, 13, v34
	global_load_dwordx4 v[8:11], v3, s[2:3]
	v_add_nc_u16 v0, v1, v0
	v_lshlrev_b32_e32 v1, 4, v45
	v_add_lshl_u32 v75, v43, v45, 2
	v_lshrrev_b16 v46, 3, v0
	global_load_dwordx4 v[4:7], v1, s[2:3]
	v_mul_lo_u16 v0, v46, 11
	v_mul_u32_u24_sdwa v46, v46, v50 dst_sel:DWORD dst_unused:UNUSED_PAD src0_sel:WORD_0 src1_sel:DWORD
	v_sub_nc_u16 v0, v33, v0
	v_and_b32_e32 v47, 0xff, v0
	v_lshlrev_b32_e32 v0, 4, v47
	v_add_lshl_u32 v74, v46, v47, 2
	global_load_dwordx4 v[0:3], v0, s[2:3]
	ds_read_b32 v49, v56 offset:3080
	ds_read2_b32 v[16:17], v27 offset0:74 offset1:129
	ds_read2_b32 v[18:19], v27 offset0:184 offset1:239
	;; [unrolled: 1-line block ×5, first 2 shown]
	s_waitcnt vmcnt(0) lgkmcnt(0)
	s_barrier
	buffer_gl0_inv
	v_lshrrev_b32_e32 v81, 16, v49
	v_lshrrev_b32_e32 v82, 16, v16
	;; [unrolled: 1-line block ×11, first 2 shown]
	v_mul_f16_sdwa v42, v52, v8 dst_sel:DWORD dst_unused:UNUSED_PAD src0_sel:DWORD src1_sel:WORD_1
	v_mul_f16_sdwa v43, v13, v8 dst_sel:DWORD dst_unused:UNUSED_PAD src0_sel:DWORD src1_sel:WORD_1
	;; [unrolled: 1-line block ×16, first 2 shown]
	v_fma_f16 v13, v13, v8, -v42
	v_fmac_f16_e32 v43, v52, v8
	v_fma_f16 v16, v16, v9, -v44
	v_fmac_f16_e32 v45, v82, v9
	;; [unrolled: 2-line block ×5, first 2 shown]
	v_fma_f16 v17, v17, v5, -v95
	v_fma_f16 v40, v40, v6, -v97
	;; [unrolled: 1-line block ×3, first 2 shown]
	v_fmac_f16_e32 v96, v86, v5
	v_fmac_f16_e32 v98, v87, v6
	v_mul_f16_sdwa v42, v89, v0 dst_sel:DWORD dst_unused:UNUSED_PAD src0_sel:DWORD src1_sel:WORD_1
	v_mul_f16_sdwa v44, v39, v0 dst_sel:DWORD dst_unused:UNUSED_PAD src0_sel:DWORD src1_sel:WORD_1
	;; [unrolled: 1-line block ×7, first 2 shown]
	v_fmac_f16_e32 v100, v88, v7
	v_mul_f16_sdwa v85, v49, v3 dst_sel:DWORD dst_unused:UNUSED_PAD src0_sel:DWORD src1_sel:WORD_1
	v_fma_f16 v39, v39, v0, -v42
	v_fmac_f16_e32 v44, v89, v0
	v_fma_f16 v18, v18, v1, -v46
	v_fmac_f16_e32 v52, v50, v1
	;; [unrolled: 2-line block ×3, first 2 shown]
	v_fma_f16 v42, v49, v3, -v84
	v_add_f16_e32 v46, v14, v13
	v_add_f16_e32 v49, v16, v19
	v_sub_f16_e32 v82, v13, v16
	v_sub_f16_e32 v84, v36, v19
	;; [unrolled: 1-line block ×4, first 2 shown]
	v_add_f16_e32 v89, v51, v43
	v_add_f16_e32 v90, v45, v47
	;; [unrolled: 1-line block ×5, first 2 shown]
	v_sub_f16_e32 v105, v38, v17
	v_sub_f16_e32 v106, v37, v40
	v_add_f16_e32 v110, v53, v94
	v_fmac_f16_e32 v85, v81, v3
	v_add_f16_e32 v86, v13, v36
	v_sub_f16_e32 v93, v43, v45
	v_sub_f16_e32 v95, v92, v47
	v_add_f16_e32 v111, v96, v98
	v_add_f16_e32 v115, v94, v100
	;; [unrolled: 1-line block ×3, first 2 shown]
	v_sub_f16_e32 v50, v43, v92
	v_sub_f16_e32 v81, v45, v47
	;; [unrolled: 1-line block ×13, first 2 shown]
	v_add_f16_e32 v16, v46, v16
	v_fma_f16 v46, -0.5, v49, v14
	v_add_f16_e32 v49, v82, v84
	v_add_f16_e32 v82, v87, v88
	;; [unrolled: 1-line block ×3, first 2 shown]
	v_fma_f16 v84, -0.5, v90, v51
	v_fmac_f16_e32 v51, -0.5, v97
	v_add_f16_e32 v17, v101, v17
	v_fma_f16 v87, -0.5, v102, v15
	v_add_f16_e32 v88, v105, v106
	v_add_f16_e32 v90, v110, v96
	;; [unrolled: 1-line block ×4, first 2 shown]
	v_sub_f16_e32 v102, v39, v18
	v_sub_f16_e32 v105, v42, v41
	v_add_f16_e32 v110, v52, v83
	v_fma_f16 v14, -0.5, v86, v14
	v_add_f16_e32 v86, v93, v95
	v_fma_f16 v93, -0.5, v111, v53
	v_fmac_f16_e32 v53, -0.5, v115
	v_add_f16_e32 v106, v39, v42
	v_add_f16_e32 v115, v44, v85
	v_sub_f16_e32 v38, v38, v37
	v_fmac_f16_e32 v15, -0.5, v107
	v_sub_f16_e32 v114, v100, v98
	v_add_f16_e32 v43, v43, v99
	v_add_f16_e32 v89, v108, v109
	v_sub_f16_e32 v99, v44, v85
	v_sub_f16_e32 v107, v18, v39
	v_add_f16_e32 v109, v55, v44
	v_sub_f16_e32 v39, v39, v42
	v_sub_f16_e32 v111, v18, v41
	v_add_f16_e32 v16, v16, v19
	v_fmamk_f16 v19, v50, 0x3b9c, v46
	v_add_f16_e32 v45, v45, v47
	v_fmamk_f16 v47, v13, 0xbb9c, v84
	v_fmamk_f16 v118, v91, 0x3b9c, v51
	v_fmac_f16_e32 v51, 0xbb9c, v91
	v_add_f16_e32 v17, v17, v40
	v_add_f16_e32 v18, v96, v18
	v_fma_f16 v96, -0.5, v97, v12
	v_add_f16_e32 v97, v102, v105
	v_fma_f16 v105, -0.5, v110, v55
	v_sub_f16_e32 v116, v98, v100
	v_sub_f16_e32 v101, v52, v83
	v_fmamk_f16 v117, v81, 0xbb9c, v14
	v_fmac_f16_e32 v14, 0x3b9c, v81
	v_fmamk_f16 v120, v112, 0x3b9c, v53
	v_fmac_f16_e32 v53, 0xbb9c, v112
	v_fmac_f16_e32 v12, -0.5, v106
	v_fmac_f16_e32 v55, -0.5, v115
	v_fmac_f16_e32 v46, 0xbb9c, v50
	v_fmac_f16_e32 v84, 0x3b9c, v13
	v_fmamk_f16 v40, v103, 0x3b9c, v87
	v_fmamk_f16 v119, v104, 0xbb9c, v15
	v_fmac_f16_e32 v15, 0x3b9c, v104
	v_add_f16_e32 v90, v90, v98
	v_fmamk_f16 v98, v38, 0xbb9c, v93
	v_fmac_f16_e32 v87, 0xbb9c, v103
	v_fmac_f16_e32 v93, 0x3b9c, v38
	v_add_f16_e32 v95, v113, v114
	v_sub_f16_e32 v113, v44, v52
	v_sub_f16_e32 v114, v85, v83
	;; [unrolled: 1-line block ×3, first 2 shown]
	v_add_f16_e32 v52, v109, v52
	v_add_f16_e32 v16, v16, v36
	v_fmac_f16_e32 v19, 0x38b4, v81
	v_add_f16_e32 v36, v45, v92
	v_fmac_f16_e32 v47, 0xb8b4, v91
	v_fmac_f16_e32 v118, 0xb8b4, v13
	;; [unrolled: 1-line block ×3, first 2 shown]
	v_add_f16_e32 v13, v17, v37
	v_fmamk_f16 v37, v99, 0x3b9c, v96
	v_fmamk_f16 v45, v39, 0xbb9c, v105
	v_add_f16_e32 v94, v94, v116
	v_sub_f16_e32 v108, v41, v42
	v_sub_f16_e32 v116, v83, v85
	v_fmac_f16_e32 v117, 0x38b4, v50
	v_fmac_f16_e32 v14, 0xb8b4, v50
	;; [unrolled: 1-line block ×4, first 2 shown]
	v_fmamk_f16 v38, v101, 0xbb9c, v12
	v_fmac_f16_e32 v12, 0x3b9c, v101
	v_fmamk_f16 v50, v111, 0x3b9c, v55
	v_fmac_f16_e32 v55, 0xbb9c, v111
	v_fmac_f16_e32 v46, 0xb8b4, v81
	;; [unrolled: 1-line block ×11, first 2 shown]
	v_add_f16_e32 v106, v113, v114
	v_add_f16_e32 v17, v90, v100
	;; [unrolled: 1-line block ×4, first 2 shown]
	v_fmac_f16_e32 v19, 0x34f2, v49
	v_fmac_f16_e32 v47, 0x34f2, v86
	;; [unrolled: 1-line block ×4, first 2 shown]
	v_add_f16_e32 v102, v107, v108
	v_add_f16_e32 v44, v44, v116
	v_fmac_f16_e32 v117, 0x34f2, v82
	v_fmac_f16_e32 v14, 0x34f2, v82
	;; [unrolled: 1-line block ×20, first 2 shown]
	v_add_f16_e32 v18, v18, v42
	v_add_f16_e32 v41, v41, v85
	v_pack_b32_f16 v16, v16, v36
	v_pack_b32_f16 v13, v13, v17
	v_fmac_f16_e32 v37, 0x34f2, v97
	v_fmac_f16_e32 v45, 0x34f2, v106
	v_pack_b32_f16 v17, v19, v47
	v_fmac_f16_e32 v38, 0x34f2, v102
	v_fmac_f16_e32 v12, 0x34f2, v102
	;; [unrolled: 1-line block ×4, first 2 shown]
	v_pack_b32_f16 v19, v117, v118
	v_pack_b32_f16 v14, v14, v51
	v_fmac_f16_e32 v96, 0x34f2, v97
	v_fmac_f16_e32 v105, 0x34f2, v106
	v_pack_b32_f16 v36, v46, v84
	v_pack_b32_f16 v39, v40, v98
	;; [unrolled: 1-line block ×6, first 2 shown]
	ds_write2_b32 v78, v16, v17 offset1:11
	ds_write2_b32 v78, v19, v14 offset0:22 offset1:33
	ds_write_b32 v78, v36 offset:176
	ds_write2_b32 v75, v13, v39 offset1:11
	v_pack_b32_f16 v13, v37, v45
	v_pack_b32_f16 v14, v38, v50
	;; [unrolled: 1-line block ×4, first 2 shown]
	ds_write2_b32 v75, v40, v15 offset0:22 offset1:33
	ds_write_b32 v75, v42 offset:176
	ds_write2_b32 v74, v18, v13 offset1:11
	ds_write2_b32 v74, v14, v12 offset0:22 offset1:33
	ds_write_b32 v74, v16 offset:176
	v_mul_lo_u16 v12, v34, 55
	v_mov_b32_e32 v13, 4
	s_waitcnt lgkmcnt(0)
	s_barrier
	buffer_gl0_inv
	v_sub_nc_u16 v51, v33, v12
	global_load_dwordx4 v[16:19], v35, s[2:3] offset:176
	v_lshlrev_b32_e32 v34, 3, v65
	v_lshlrev_b32_e32 v52, 3, v32
	v_add_co_u32 v32, s0, s2, v35
	v_lshlrev_b32_sdwa v12, v13, v51 dst_sel:DWORD dst_unused:UNUSED_PAD src0_sel:DWORD src1_sel:BYTE_0
	v_lshlrev_b32_sdwa v81, v31, v51 dst_sel:DWORD dst_unused:UNUSED_PAD src0_sel:DWORD src1_sel:BYTE_0
	global_load_dwordx4 v[12:15], v12, s[2:3] offset:176
	ds_read2_b32 v[36:37], v56 offset1:55
	ds_read2_b32 v[38:39], v56 offset0:110 offset1:165
	ds_read2_b32 v[40:41], v27 offset0:74 offset1:129
	;; [unrolled: 1-line block ×6, first 2 shown]
	ds_read_b32 v51, v56 offset:3080
	v_add_co_ci_u32_e64 v35, null, s3, 0, s0
	v_sub_co_u32 v31, s0, v32, v34
	s_waitcnt vmcnt(0) lgkmcnt(0)
	v_subrev_co_ci_u32_e64 v32, s0, 0, v35, s0
	v_add_nc_u32_e32 v35, 0x800, v81
	s_barrier
	buffer_gl0_inv
	v_lshrrev_b32_e32 v53, 16, v36
	v_lshrrev_b32_e32 v55, 16, v39
	;; [unrolled: 1-line block ×15, first 2 shown]
	v_mul_f16_sdwa v95, v55, v16 dst_sel:DWORD dst_unused:UNUSED_PAD src0_sel:DWORD src1_sel:WORD_1
	v_mul_f16_sdwa v96, v39, v16 dst_sel:DWORD dst_unused:UNUSED_PAD src0_sel:DWORD src1_sel:WORD_1
	;; [unrolled: 1-line block ×24, first 2 shown]
	v_fma_f16 v39, v39, v16, -v95
	v_fmac_f16_e32 v96, v55, v16
	v_fma_f16 v40, v40, v17, -v97
	v_fmac_f16_e32 v98, v82, v17
	;; [unrolled: 2-line block ×12, first 2 shown]
	v_add_f16_e32 v55, v36, v39
	v_add_f16_e32 v82, v40, v43
	v_sub_f16_e32 v86, v39, v40
	v_sub_f16_e32 v87, v44, v43
	v_add_f16_e32 v88, v39, v44
	v_add_f16_e32 v92, v53, v96
	v_add_f16_e32 v93, v98, v100
	v_add_f16_e32 v99, v96, v102
	v_sub_f16_e32 v83, v96, v102
	v_sub_f16_e32 v89, v40, v39
	;; [unrolled: 1-line block ×7, first 2 shown]
	v_add_f16_e32 v103, v37, v46
	v_add_f16_e32 v105, v41, v49
	;; [unrolled: 1-line block ×10, first 2 shown]
	v_sub_f16_e32 v39, v39, v44
	v_sub_f16_e32 v94, v40, v43
	v_add_f16_e32 v127, v38, v47
	v_add_f16_e32 v136, v90, v112
	;; [unrolled: 1-line block ×3, first 2 shown]
	v_fma_f16 v55, -0.5, v82, v36
	v_add_f16_e32 v82, v86, v87
	v_fma_f16 v36, -0.5, v88, v36
	v_add_f16_e32 v87, v92, v98
	v_fma_f16 v88, -0.5, v93, v53
	v_sub_f16_e32 v84, v98, v100
	v_sub_f16_e32 v111, v46, v41
	;; [unrolled: 1-line block ×3, first 2 shown]
	v_fmac_f16_e32 v53, -0.5, v99
	v_sub_f16_e32 v107, v104, v110
	v_sub_f16_e32 v109, v106, v108
	;; [unrolled: 1-line block ×6, first 2 shown]
	v_add_f16_e32 v86, v89, v91
	v_add_f16_e32 v89, v95, v97
	;; [unrolled: 1-line block ×4, first 2 shown]
	v_fma_f16 v92, -0.5, v105, v37
	v_fmac_f16_e32 v37, -0.5, v115
	v_add_f16_e32 v96, v120, v106
	v_fma_f16 v97, -0.5, v121, v85
	v_fmac_f16_e32 v85, -0.5, v125
	v_sub_f16_e32 v123, v104, v106
	v_sub_f16_e32 v104, v106, v104
	;; [unrolled: 1-line block ×4, first 2 shown]
	v_fma_f16 v101, -0.5, v128, v38
	v_fmac_f16_e32 v38, -0.5, v133
	v_fma_f16 v106, -0.5, v137, v90
	v_fmac_f16_e32 v90, -0.5, v141
	v_sub_f16_e32 v129, v112, v118
	v_sub_f16_e32 v131, v47, v42
	;; [unrolled: 1-line block ×4, first 2 shown]
	v_add_f16_e32 v42, v127, v42
	v_add_f16_e32 v105, v136, v114
	;; [unrolled: 1-line block ×3, first 2 shown]
	v_fmamk_f16 v43, v83, 0x3b9c, v55
	v_add_f16_e32 v87, v87, v100
	v_fmamk_f16 v100, v39, 0xbb9c, v88
	v_sub_f16_e32 v139, v112, v114
	v_sub_f16_e32 v112, v114, v112
	v_add_f16_e32 v93, v111, v113
	v_fmamk_f16 v113, v84, 0xbb9c, v36
	v_fmac_f16_e32 v36, 0x3b9c, v84
	v_fmamk_f16 v114, v94, 0x3b9c, v53
	v_fmac_f16_e32 v53, 0xbb9c, v94
	v_fmac_f16_e32 v55, 0xbb9c, v83
	;; [unrolled: 1-line block ×3, first 2 shown]
	v_sub_f16_e32 v124, v110, v108
	v_sub_f16_e32 v126, v108, v110
	v_add_f16_e32 v95, v117, v119
	v_add_f16_e32 v41, v41, v49
	v_fmamk_f16 v49, v107, 0x3b9c, v92
	v_fmamk_f16 v115, v109, 0xbb9c, v37
	v_add_f16_e32 v96, v96, v108
	v_fmamk_f16 v108, v46, 0xbb9c, v97
	v_fmamk_f16 v117, v122, 0x3b9c, v85
	v_sub_f16_e32 v135, v50, v51
	v_sub_f16_e32 v142, v116, v118
	v_fmac_f16_e32 v92, 0xbb9c, v107
	v_fmac_f16_e32 v37, 0x3b9c, v109
	;; [unrolled: 1-line block ×4, first 2 shown]
	v_fmamk_f16 v119, v130, 0xbb9c, v38
	v_fmac_f16_e32 v38, 0x3b9c, v130
	v_fmamk_f16 v120, v138, 0x3b9c, v90
	v_fmac_f16_e32 v90, 0xbb9c, v138
	v_sub_f16_e32 v132, v51, v50
	v_sub_f16_e32 v140, v118, v116
	v_add_f16_e32 v42, v42, v50
	v_fmamk_f16 v50, v129, 0x3b9c, v101
	v_fmac_f16_e32 v101, 0xbb9c, v129
	v_add_f16_e32 v105, v105, v116
	v_fmamk_f16 v116, v47, 0xbb9c, v106
	v_fmac_f16_e32 v106, 0x3b9c, v47
	v_fmac_f16_e32 v43, 0x38b4, v84
	;; [unrolled: 1-line block ×9, first 2 shown]
	v_add_f16_e32 v98, v123, v124
	v_add_f16_e32 v99, v104, v126
	v_fmac_f16_e32 v49, 0x38b4, v109
	v_fmac_f16_e32 v115, 0x38b4, v107
	;; [unrolled: 1-line block ×4, first 2 shown]
	v_add_f16_e32 v104, v134, v135
	v_add_f16_e32 v112, v112, v142
	v_fmac_f16_e32 v92, 0xb8b4, v109
	v_fmac_f16_e32 v37, 0xb8b4, v107
	;; [unrolled: 1-line block ×6, first 2 shown]
	v_add_f16_e32 v103, v131, v132
	v_add_f16_e32 v111, v139, v140
	;; [unrolled: 1-line block ×7, first 2 shown]
	v_fmac_f16_e32 v50, 0x38b4, v130
	v_fmac_f16_e32 v101, 0xb8b4, v130
	;; [unrolled: 1-line block ×3, first 2 shown]
	v_add_f16_e32 v45, v105, v118
	v_fmac_f16_e32 v116, 0xb8b4, v138
	v_fmac_f16_e32 v106, 0x38b4, v138
	;; [unrolled: 1-line block ×27, first 2 shown]
	v_pack_b32_f16 v40, v40, v44
	v_pack_b32_f16 v39, v39, v41
	;; [unrolled: 1-line block ×15, first 2 shown]
	ds_write2_b32 v56, v40, v42 offset1:55
	ds_write2_b32 v56, v43, v36 offset0:110 offset1:165
	ds_write2_b32 v48, v44, v39 offset0:92 offset1:147
	;; [unrolled: 1-line block ×6, first 2 shown]
	ds_write_b32 v81, v51 offset:3080
	s_waitcnt lgkmcnt(0)
	s_barrier
	buffer_gl0_inv
	s_clause 0x1
	global_load_dwordx2 v[39:40], v[31:32], off offset:1056
	global_load_dwordx2 v[37:38], v52, s[2:3] offset:1056
	v_lshlrev_b32_e32 v31, 3, v33
	v_add_nc_u32_e32 v32, 0x528, v34
	v_add_co_u32 v46, s0, 0xce4, v22
	v_add_co_ci_u32_e64 v47, s0, 0, v23, s0
	global_load_dwordx2 v[35:36], v31, s[2:3] offset:1056
	v_add_nc_u32_e32 v31, 0x6e0, v34
	s_clause 0x1
	global_load_dwordx2 v[33:34], v32, s[2:3] offset:1056
	global_load_dwordx2 v[31:32], v31, s[2:3] offset:1056
	ds_read2_b32 v[49:50], v56 offset1:55
	ds_read2_b32 v[43:44], v48 offset0:92 offset1:147
	ds_read2_b32 v[51:52], v54 offset0:38 offset1:93
	;; [unrolled: 1-line block ×6, first 2 shown]
	ds_read_b32 v45, v56 offset:3080
	s_waitcnt lgkmcnt(7)
	v_lshrrev_b32_e32 v53, 16, v49
	s_waitcnt lgkmcnt(6)
	v_lshrrev_b32_e32 v55, 16, v44
	;; [unrolled: 2-line block ×4, first 2 shown]
	v_lshrrev_b32_e32 v93, 16, v52
	v_lshrrev_b32_e32 v95, 16, v85
	s_waitcnt lgkmcnt(2)
	v_lshrrev_b32_e32 v96, 16, v86
	s_waitcnt lgkmcnt(1)
	v_lshrrev_b32_e32 v97, 16, v88
	v_lshrrev_b32_e32 v98, 16, v87
	;; [unrolled: 1-line block ×3, first 2 shown]
	s_waitcnt lgkmcnt(0)
	v_lshrrev_b32_e32 v100, 16, v45
	v_lshrrev_b32_e32 v91, 16, v50
	v_lshrrev_b32_e32 v83, 16, v43
	v_lshrrev_b32_e32 v94, 16, v41
	v_lshrrev_b32_e32 v82, 16, v42
	s_waitcnt vmcnt(4)
	v_mul_f16_sdwa v101, v55, v39 dst_sel:DWORD dst_unused:UNUSED_PAD src0_sel:DWORD src1_sel:WORD_1
	v_mul_f16_sdwa v102, v44, v39 dst_sel:DWORD dst_unused:UNUSED_PAD src0_sel:DWORD src1_sel:WORD_1
	v_mul_f16_sdwa v103, v90, v40 dst_sel:DWORD dst_unused:UNUSED_PAD src0_sel:DWORD src1_sel:WORD_1
	v_mul_f16_sdwa v104, v51, v40 dst_sel:DWORD dst_unused:UNUSED_PAD src0_sel:DWORD src1_sel:WORD_1
	s_waitcnt vmcnt(3)
	v_mul_f16_sdwa v105, v92, v37 dst_sel:DWORD dst_unused:UNUSED_PAD src0_sel:DWORD src1_sel:WORD_1
	v_mul_f16_sdwa v106, v84, v37 dst_sel:DWORD dst_unused:UNUSED_PAD src0_sel:DWORD src1_sel:WORD_1
	v_mul_f16_sdwa v107, v93, v38 dst_sel:DWORD dst_unused:UNUSED_PAD src0_sel:DWORD src1_sel:WORD_1
	v_mul_f16_sdwa v108, v52, v38 dst_sel:DWORD dst_unused:UNUSED_PAD src0_sel:DWORD src1_sel:WORD_1
	;; [unrolled: 5-line block ×5, first 2 shown]
	v_fma_f16 v44, v44, v39, -v101
	v_fmac_f16_e32 v102, v55, v39
	v_fma_f16 v51, v51, v40, -v103
	v_fmac_f16_e32 v104, v90, v40
	;; [unrolled: 2-line block ×10, first 2 shown]
	v_add_f16_e32 v90, v44, v51
	v_add_f16_e32 v95, v102, v104
	v_sub_f16_e32 v92, v102, v104
	v_add_f16_e32 v93, v53, v102
	v_add_f16_e32 v97, v55, v52
	v_sub_f16_e32 v98, v106, v108
	v_add_f16_e32 v99, v91, v106
	v_add_f16_e32 v100, v106, v108
	;; [unrolled: 1-line block ×5, first 2 shown]
	v_sub_f16_e32 v44, v44, v51
	v_add_f16_e32 v109, v86, v87
	v_add_f16_e32 v113, v114, v116
	;; [unrolled: 1-line block ×3, first 2 shown]
	v_sub_f16_e32 v117, v118, v120
	v_add_f16_e32 v119, v83, v118
	v_add_f16_e32 v118, v118, v120
	v_fma_f16 v49, -0.5, v90, v49
	v_fmac_f16_e32 v53, -0.5, v95
	v_add_f16_e32 v96, v50, v55
	v_sub_f16_e32 v55, v55, v52
	v_sub_f16_e32 v103, v110, v112
	v_add_f16_e32 v105, v94, v110
	v_sub_f16_e32 v107, v84, v85
	v_fmac_f16_e32 v50, -0.5, v97
	v_fmac_f16_e32 v91, -0.5, v100
	v_fma_f16 v95, -0.5, v102, v41
	v_fmac_f16_e32 v94, -0.5, v106
	v_add_f16_e32 v101, v41, v84
	v_add_f16_e32 v84, v42, v86
	v_sub_f16_e32 v110, v114, v116
	v_add_f16_e32 v111, v82, v114
	v_sub_f16_e32 v86, v86, v87
	;; [unrolled: 2-line block ×3, first 2 shown]
	v_add_f16_e32 v51, v89, v51
	v_add_f16_e32 v89, v93, v104
	;; [unrolled: 1-line block ×3, first 2 shown]
	v_fmac_f16_e32 v42, -0.5, v109
	v_fmac_f16_e32 v82, -0.5, v113
	;; [unrolled: 1-line block ×4, first 2 shown]
	v_fmamk_f16 v99, v92, 0x3aee, v49
	v_fmac_f16_e32 v49, 0xbaee, v92
	v_fmamk_f16 v92, v44, 0xbaee, v53
	v_fmac_f16_e32 v53, 0x3aee, v44
	v_add_f16_e32 v52, v96, v52
	v_fmamk_f16 v44, v98, 0x3aee, v50
	v_fmac_f16_e32 v50, 0xbaee, v98
	v_fmamk_f16 v98, v55, 0xbaee, v91
	v_fmac_f16_e32 v91, 0x3aee, v55
	v_fmamk_f16 v55, v103, 0x3aee, v95
	v_fmamk_f16 v100, v107, 0xbaee, v94
	v_fmac_f16_e32 v95, 0xbaee, v103
	v_fmac_f16_e32 v94, 0x3aee, v107
	v_add_f16_e32 v93, v101, v85
	v_add_f16_e32 v96, v105, v112
	;; [unrolled: 1-line block ×6, first 2 shown]
	v_fmamk_f16 v101, v110, 0x3aee, v42
	v_fmac_f16_e32 v42, 0xbaee, v110
	v_fmamk_f16 v102, v86, 0xbaee, v82
	v_fmac_f16_e32 v82, 0x3aee, v86
	;; [unrolled: 2-line block ×4, first 2 shown]
	v_pack_b32_f16 v51, v51, v89
	v_pack_b32_f16 v89, v99, v92
	;; [unrolled: 1-line block ×15, first 2 shown]
	ds_write_b32 v56, v89 offset:1100
	ds_write_b32 v56, v49 offset:2200
	ds_write2_b32 v56, v51, v52 offset1:55
	ds_write2_b32 v27, v44, v53 offset0:74 offset1:129
	ds_write2_b32 v54, v50, v55 offset0:93 offset1:148
	;; [unrolled: 1-line block ×3, first 2 shown]
	ds_write_b32 v56, v91 offset:2860
	ds_write_b32 v56, v88 offset:880
	ds_write2_b32 v27, v90, v92 offset0:184 offset1:239
	ds_write_b32 v56, v93 offset:3080
	s_waitcnt lgkmcnt(0)
	s_barrier
	buffer_gl0_inv
	s_clause 0x2
	global_load_dword v44, v[20:21], off offset:1252
	global_load_dword v53, v[46:47], off offset:300
	global_load_dword v55, v[46:47], off offset:600
	v_add_co_u32 v49, s0, 0x1000, v22
	v_add_co_ci_u32_e64 v50, s0, 0, v23, s0
	v_add_co_u32 v51, s0, 0x1800, v22
	v_add_co_ci_u32_e64 v52, s0, 0, v23, s0
	s_clause 0x7
	global_load_dword v90, v[46:47], off offset:900
	global_load_dword v91, v[46:47], off offset:1200
	;; [unrolled: 1-line block ×8, first 2 shown]
	ds_read2_b32 v[49:50], v56 offset1:75
	s_waitcnt lgkmcnt(0)
	v_lshrrev_b32_e32 v51, 16, v49
	v_lshrrev_b32_e32 v52, 16, v50
	s_waitcnt vmcnt(10)
	v_mul_f16_sdwa v86, v51, v44 dst_sel:DWORD dst_unused:UNUSED_PAD src0_sel:DWORD src1_sel:WORD_1
	v_mul_f16_sdwa v87, v49, v44 dst_sel:DWORD dst_unused:UNUSED_PAD src0_sel:DWORD src1_sel:WORD_1
	s_waitcnt vmcnt(9)
	v_mul_f16_sdwa v88, v52, v53 dst_sel:DWORD dst_unused:UNUSED_PAD src0_sel:DWORD src1_sel:WORD_1
	v_mul_f16_sdwa v89, v50, v53 dst_sel:DWORD dst_unused:UNUSED_PAD src0_sel:DWORD src1_sel:WORD_1
	v_fma_f16 v49, v49, v44, -v86
	v_fmac_f16_e32 v87, v51, v44
	v_fma_f16 v44, v50, v53, -v88
	v_fmac_f16_e32 v89, v52, v53
	v_pack_b32_f16 v49, v49, v87
	v_pack_b32_f16 v44, v44, v89
	ds_write2_b32 v56, v49, v44 offset1:75
	ds_read2_b32 v[49:50], v56 offset0:150 offset1:225
	v_add_nc_u32_e32 v44, 0x600, v56
	ds_read2_b32 v[51:52], v27 offset0:44 offset1:119
	ds_read2_b32 v[86:87], v44 offset0:66 offset1:141
	;; [unrolled: 1-line block ×3, first 2 shown]
	ds_read_b32 v53, v56 offset:3000
	s_waitcnt lgkmcnt(4)
	v_lshrrev_b32_e32 v98, 16, v49
	s_waitcnt vmcnt(8)
	v_mul_f16_sdwa v99, v49, v55 dst_sel:DWORD dst_unused:UNUSED_PAD src0_sel:DWORD src1_sel:WORD_1
	v_lshrrev_b32_e32 v100, 16, v50
	s_waitcnt vmcnt(7)
	v_mul_f16_sdwa v101, v50, v90 dst_sel:DWORD dst_unused:UNUSED_PAD src0_sel:DWORD src1_sel:WORD_1
	s_waitcnt lgkmcnt(3)
	v_lshrrev_b32_e32 v102, 16, v51
	s_waitcnt vmcnt(6)
	v_mul_f16_sdwa v103, v51, v91 dst_sel:DWORD dst_unused:UNUSED_PAD src0_sel:DWORD src1_sel:WORD_1
	v_lshrrev_b32_e32 v104, 16, v52
	s_waitcnt vmcnt(5)
	v_mul_f16_sdwa v105, v52, v92 dst_sel:DWORD dst_unused:UNUSED_PAD src0_sel:DWORD src1_sel:WORD_1
	;; [unrolled: 7-line block ×4, first 2 shown]
	s_waitcnt lgkmcnt(0)
	v_lshrrev_b32_e32 v114, 16, v53
	v_mul_f16_sdwa v116, v98, v55 dst_sel:DWORD dst_unused:UNUSED_PAD src0_sel:DWORD src1_sel:WORD_1
	v_fmac_f16_e32 v99, v98, v55
	v_mul_f16_sdwa v98, v100, v90 dst_sel:DWORD dst_unused:UNUSED_PAD src0_sel:DWORD src1_sel:WORD_1
	v_fmac_f16_e32 v101, v100, v90
	;; [unrolled: 2-line block ×7, first 2 shown]
	v_mul_f16_sdwa v110, v112, v96 dst_sel:DWORD dst_unused:UNUSED_PAD src0_sel:DWORD src1_sel:WORD_1
	s_waitcnt vmcnt(0)
	v_mul_f16_sdwa v115, v53, v97 dst_sel:DWORD dst_unused:UNUSED_PAD src0_sel:DWORD src1_sel:WORD_1
	v_fmac_f16_e32 v113, v112, v96
	v_mul_f16_sdwa v112, v114, v97 dst_sel:DWORD dst_unused:UNUSED_PAD src0_sel:DWORD src1_sel:WORD_1
	v_fma_f16 v49, v49, v55, -v116
	v_fma_f16 v50, v50, v90, -v98
	;; [unrolled: 1-line block ×8, first 2 shown]
	v_fmac_f16_e32 v115, v114, v97
	v_fma_f16 v53, v53, v97, -v112
	v_pack_b32_f16 v49, v49, v99
	v_pack_b32_f16 v50, v50, v101
	;; [unrolled: 1-line block ×9, first 2 shown]
	ds_write2_b32 v56, v49, v50 offset0:150 offset1:225
	ds_write2_b32 v27, v51, v52 offset0:44 offset1:119
	;; [unrolled: 1-line block ×4, first 2 shown]
	ds_write_b32 v56, v53 offset:3000
	s_and_saveexec_b32 s1, vcc_lo
	s_cbranch_execz .LBB0_9
; %bb.8:
	s_clause 0x6
	global_load_dword v53, v[46:47], off offset:220
	global_load_dword v55, v[46:47], off offset:520
	;; [unrolled: 1-line block ×7, first 2 shown]
	v_add_co_u32 v46, s0, 0x800, v46
	v_add_co_ci_u32_e64 v47, s0, 0, v47, s0
	s_clause 0x3
	global_load_dword v95, v[46:47], off offset:272
	global_load_dword v96, v[46:47], off offset:572
	;; [unrolled: 1-line block ×4, first 2 shown]
	ds_read2_b32 v[46:47], v56 offset0:55 offset1:130
	ds_read2_b32 v[49:50], v48 offset0:77 offset1:152
	ds_read2_b32 v[51:52], v27 offset0:99 offset1:174
	ds_read2_b32 v[86:87], v44 offset0:121 offset1:196
	ds_read2_b32 v[88:89], v54 offset0:143 offset1:218
	ds_read_b32 v99, v56 offset:3220
	s_waitcnt lgkmcnt(5)
	v_lshrrev_b32_e32 v100, 16, v46
	v_lshrrev_b32_e32 v101, 16, v47
	s_waitcnt lgkmcnt(4)
	v_lshrrev_b32_e32 v102, 16, v49
	s_waitcnt lgkmcnt(2)
	v_lshrrev_b32_e32 v106, 16, v86
	v_lshrrev_b32_e32 v103, 16, v50
	;; [unrolled: 1-line block ×5, first 2 shown]
	s_waitcnt lgkmcnt(1)
	v_lshrrev_b32_e32 v108, 16, v88
	v_lshrrev_b32_e32 v109, 16, v89
	s_waitcnt lgkmcnt(0)
	v_lshrrev_b32_e32 v110, 16, v99
	s_waitcnt vmcnt(10)
	v_mul_f16_sdwa v111, v100, v53 dst_sel:DWORD dst_unused:UNUSED_PAD src0_sel:DWORD src1_sel:WORD_1
	v_mul_f16_sdwa v112, v46, v53 dst_sel:DWORD dst_unused:UNUSED_PAD src0_sel:DWORD src1_sel:WORD_1
	s_waitcnt vmcnt(9)
	v_mul_f16_sdwa v113, v101, v55 dst_sel:DWORD dst_unused:UNUSED_PAD src0_sel:DWORD src1_sel:WORD_1
	v_mul_f16_sdwa v114, v47, v55 dst_sel:DWORD dst_unused:UNUSED_PAD src0_sel:DWORD src1_sel:WORD_1
	;; [unrolled: 3-line block ×4, first 2 shown]
	v_mul_f16_sdwa v118, v50, v91 dst_sel:DWORD dst_unused:UNUSED_PAD src0_sel:DWORD src1_sel:WORD_1
	v_mul_f16_sdwa v119, v104, v92 dst_sel:DWORD dst_unused:UNUSED_PAD src0_sel:DWORD src1_sel:WORD_1
	;; [unrolled: 1-line block ×6, first 2 shown]
	v_fma_f16 v46, v46, v53, -v111
	v_fmac_f16_e32 v112, v100, v53
	v_fma_f16 v47, v47, v55, -v113
	v_fmac_f16_e32 v114, v101, v55
	v_fma_f16 v53, v86, v94, -v123
	s_waitcnt vmcnt(3)
	v_mul_f16_sdwa v55, v107, v95 dst_sel:DWORD dst_unused:UNUSED_PAD src0_sel:DWORD src1_sel:WORD_1
	v_mul_f16_sdwa v86, v87, v95 dst_sel:DWORD dst_unused:UNUSED_PAD src0_sel:DWORD src1_sel:WORD_1
	v_fma_f16 v49, v49, v90, -v115
	v_fmac_f16_e32 v116, v102, v90
	v_fma_f16 v50, v50, v91, -v117
	v_fmac_f16_e32 v118, v103, v91
	v_fma_f16 v51, v51, v92, -v119
	v_fmac_f16_e32 v120, v104, v92
	v_fma_f16 v52, v52, v93, -v121
	v_fmac_f16_e32 v122, v105, v93
	s_waitcnt vmcnt(2)
	v_mul_f16_sdwa v90, v108, v96 dst_sel:DWORD dst_unused:UNUSED_PAD src0_sel:DWORD src1_sel:WORD_1
	v_mul_f16_sdwa v91, v88, v96 dst_sel:DWORD dst_unused:UNUSED_PAD src0_sel:DWORD src1_sel:WORD_1
	s_waitcnt vmcnt(1)
	v_mul_f16_sdwa v92, v109, v97 dst_sel:DWORD dst_unused:UNUSED_PAD src0_sel:DWORD src1_sel:WORD_1
	v_mul_f16_sdwa v93, v89, v97 dst_sel:DWORD dst_unused:UNUSED_PAD src0_sel:DWORD src1_sel:WORD_1
	v_fmac_f16_e32 v124, v106, v94
	s_waitcnt vmcnt(0)
	v_mul_f16_sdwa v94, v110, v98 dst_sel:DWORD dst_unused:UNUSED_PAD src0_sel:DWORD src1_sel:WORD_1
	v_mul_f16_sdwa v100, v99, v98 dst_sel:DWORD dst_unused:UNUSED_PAD src0_sel:DWORD src1_sel:WORD_1
	v_pack_b32_f16 v46, v46, v112
	v_pack_b32_f16 v47, v47, v114
	v_fma_f16 v55, v87, v95, -v55
	v_fmac_f16_e32 v86, v107, v95
	v_fma_f16 v87, v88, v96, -v90
	v_fmac_f16_e32 v91, v108, v96
	;; [unrolled: 2-line block ×4, first 2 shown]
	v_pack_b32_f16 v49, v49, v116
	v_pack_b32_f16 v50, v50, v118
	;; [unrolled: 1-line block ×5, first 2 shown]
	ds_write2_b32 v56, v46, v47 offset0:55 offset1:130
	v_pack_b32_f16 v46, v55, v86
	v_pack_b32_f16 v47, v87, v91
	;; [unrolled: 1-line block ×4, first 2 shown]
	ds_write2_b32 v48, v49, v50 offset0:77 offset1:152
	ds_write2_b32 v27, v51, v52 offset0:99 offset1:174
	;; [unrolled: 1-line block ×4, first 2 shown]
	ds_write_b32 v56, v86 offset:3220
.LBB0_9:
	s_or_b32 exec_lo, exec_lo, s1
	s_waitcnt lgkmcnt(0)
	s_barrier
	buffer_gl0_inv
	ds_read2_b32 v[46:47], v56 offset1:75
	ds_read2_b32 v[52:53], v56 offset0:150 offset1:225
	ds_read2_b32 v[48:49], v27 offset0:44 offset1:119
	;; [unrolled: 1-line block ×4, first 2 shown]
	ds_read_b32 v86, v56 offset:3000
	v_lshrrev_b32_e32 v27, 16, v80
	s_and_saveexec_b32 s0, vcc_lo
	s_cbranch_execz .LBB0_11
; %bb.10:
	v_add_nc_u32_e32 v25, 0x200, v56
	v_add_nc_u32_e32 v26, 0x400, v56
	;; [unrolled: 1-line block ×3, first 2 shown]
	ds_read2_b32 v[44:45], v56 offset0:55 offset1:130
	ds_read2_b32 v[41:42], v25 offset0:77 offset1:152
	v_add_nc_u32_e32 v25, 0x800, v56
	ds_read2_b32 v[29:30], v26 offset0:99 offset1:174
	ds_read2_b32 v[27:28], v27 offset0:121 offset1:196
	;; [unrolled: 1-line block ×3, first 2 shown]
	ds_read_b32 v71, v56 offset:3220
	s_waitcnt lgkmcnt(5)
	v_lshrrev_b32_e32 v82, 16, v44
	v_lshrrev_b32_e32 v84, 16, v45
	s_waitcnt lgkmcnt(4)
	v_lshrrev_b32_e32 v85, 16, v41
	v_lshrrev_b32_e32 v83, 16, v42
	;; [unrolled: 3-line block ×5, first 2 shown]
	s_waitcnt lgkmcnt(0)
	v_bfi_b32 v30, 0xffff, v30, v71
	v_mov_b32_e32 v43, v42
	v_mov_b32_e32 v42, v44
.LBB0_11:
	s_or_b32 exec_lo, exec_lo, s0
	s_waitcnt lgkmcnt(5)
	v_pk_add_f16 v44, v46, v47
	s_waitcnt lgkmcnt(0)
	v_pk_add_f16 v87, v86, v47
	v_pk_add_f16 v47, v47, v86 neg_lo:[0,1] neg_hi:[0,1]
	v_pk_add_f16 v94, v52, v55 neg_lo:[0,1] neg_hi:[0,1]
	v_mov_b32_e32 v88, 0xbb47
	v_pk_add_f16 v44, v44, v52
	v_pk_add_f16 v52, v55, v52
	v_pk_mul_f16 v95, 0xb853, v47 op_sel_hi:[0,1]
	v_mov_b32_e32 v92, 0xba0c
	v_mul_f16_sdwa v88, v47, v88 dst_sel:DWORD dst_unused:UNUSED_PAD src0_sel:WORD_1 src1_sel:DWORD
	v_pk_add_f16 v44, v44, v53
	v_mov_b32_e32 v89, 0x36a6
	v_pk_fma_f16 v99, 0x3abb, v87, v95 op_sel:[0,0,1] op_sel_hi:[0,1,0]
	v_pk_fma_f16 v95, 0x3abb, v87, v95 op_sel:[0,0,1] op_sel_hi:[0,1,0] neg_lo:[0,0,1] neg_hi:[0,0,1]
	v_mov_b32_e32 v90, 0xbbeb
	v_pk_add_f16 v44, v44, v48
	v_fmamk_f16 v100, v87, 0x36a6, v88
	v_mul_f16_sdwa v109, v94, v92 dst_sel:DWORD dst_unused:UNUSED_PAD src0_sel:WORD_1 src1_sel:DWORD
	v_bfi_b32 v104, 0xffff, v99, v95
	v_mov_b32_e32 v91, 0xb08e
	v_pk_add_f16 v44, v44, v49
	v_mov_b32_e32 v93, 0xb93d
	v_mul_f16_sdwa v96, v87, v89 dst_sel:DWORD dst_unused:UNUSED_PAD src0_sel:WORD_1 src1_sel:DWORD
	v_pk_add_f16 v104, v46, v104
	v_mul_f16_sdwa v90, v47, v90 dst_sel:DWORD dst_unused:UNUSED_PAD src0_sel:WORD_1 src1_sel:DWORD
	v_pk_add_f16 v44, v44, v50
	v_fma_f16 v88, v87, 0x36a6, -v88
	v_add_f16_e32 v100, v46, v100
	v_mov_b32_e32 v111, 0x3482
	v_mul_f16_sdwa v97, v87, v91 dst_sel:DWORD dst_unused:UNUSED_PAD src0_sel:WORD_1 src1_sel:DWORD
	v_pk_add_f16 v44, v44, v51
	v_fmamk_f16 v101, v47, 0x3b47, v96
	v_fmamk_f16 v102, v87, 0xb08e, v90
	v_fma_f16 v90, v87, 0xb08e, -v90
	v_add_f16_e32 v88, v46, v88
	v_pk_add_f16 v44, v44, v54
	v_mul_f16_sdwa v110, v52, v93 dst_sel:DWORD dst_unused:UNUSED_PAD src0_sel:WORD_1 src1_sel:DWORD
	v_mov_b32_e32 v112, 0xbbad
	v_mul_f16_sdwa v98, v47, v92 dst_sel:DWORD dst_unused:UNUSED_PAD src0_sel:WORD_1 src1_sel:DWORD
	v_fmac_f16_e32 v96, 0xbb47, v47
	v_pk_add_f16 v44, v44, v55
	v_pk_mul_f16 v55, 0xbb47, v94 op_sel_hi:[0,1]
	v_fmamk_f16 v103, v47, 0x3beb, v97
	v_add_f16_sdwa v101, v46, v101 dst_sel:DWORD dst_unused:UNUSED_PAD src0_sel:WORD_1 src1_sel:DWORD
	v_add_f16_e32 v102, v46, v102
	v_add_f16_e32 v90, v46, v90
	v_pk_fma_f16 v107, 0x36a6, v52, v55 op_sel:[0,0,1] op_sel_hi:[0,1,0]
	v_pk_fma_f16 v55, 0x36a6, v52, v55 op_sel:[0,0,1] op_sel_hi:[0,1,0] neg_lo:[0,0,1] neg_hi:[0,0,1]
	v_fmamk_f16 v113, v94, 0x3a0c, v110
	v_mul_f16_sdwa v114, v52, v112 dst_sel:DWORD dst_unused:UNUSED_PAD src0_sel:WORD_1 src1_sel:DWORD
	v_mov_b32_e32 v115, 0x3beb
	v_fmac_f16_e32 v97, 0xbbeb, v47
	v_bfi_b32 v108, 0xffff, v107, v55
	v_add_f16_sdwa v96, v46, v96 dst_sel:DWORD dst_unused:UNUSED_PAD src0_sel:WORD_1 src1_sel:DWORD
	v_add_f16_sdwa v103, v46, v103 dst_sel:DWORD dst_unused:UNUSED_PAD src0_sel:WORD_1 src1_sel:DWORD
	v_pk_add_f16 v44, v44, v86
	v_mul_f16_sdwa v86, v87, v93 dst_sel:DWORD dst_unused:UNUSED_PAD src0_sel:WORD_1 src1_sel:DWORD
	v_pk_add_f16 v104, v108, v104
	v_fmamk_f16 v108, v52, 0xb93d, v109
	v_fma_f16 v109, v52, 0xb93d, -v109
	v_fmamk_f16 v105, v87, 0xb93d, v98
	v_add_f16_e32 v101, v113, v101
	v_fmac_f16_e32 v110, 0xba0c, v94
	v_add_f16_e32 v100, v108, v100
	v_mul_f16_sdwa v108, v94, v111 dst_sel:DWORD dst_unused:UNUSED_PAD src0_sel:WORD_1 src1_sel:DWORD
	v_add_f16_e32 v88, v109, v88
	v_fmamk_f16 v113, v94, 0xb482, v114
	v_add_f16_sdwa v97, v46, v97 dst_sel:DWORD dst_unused:UNUSED_PAD src0_sel:WORD_1 src1_sel:DWORD
	v_fmamk_f16 v106, v47, 0x3a0c, v86
	v_fmamk_f16 v109, v52, 0xbbad, v108
	v_fma_f16 v108, v52, 0xbbad, -v108
	v_add_f16_e32 v105, v46, v105
	v_fma_f16 v98, v87, 0xb93d, -v98
	v_fmac_f16_e32 v86, 0xba0c, v47
	v_add_f16_e32 v102, v109, v102
	v_mul_f16_sdwa v109, v94, v115 dst_sel:DWORD dst_unused:UNUSED_PAD src0_sel:WORD_1 src1_sel:DWORD
	v_add_f16_e32 v90, v108, v90
	v_pk_add_f16 v108, v53, v54 neg_lo:[0,1] neg_hi:[0,1]
	v_add_f16_e32 v96, v110, v96
	v_add_f16_e32 v103, v113, v103
	v_fmac_f16_e32 v114, 0x3482, v94
	v_mul_f16_sdwa v110, v52, v91 dst_sel:DWORD dst_unused:UNUSED_PAD src0_sel:WORD_1 src1_sel:DWORD
	v_fmamk_f16 v113, v52, 0xb08e, v109
	v_pk_add_f16 v53, v54, v53
	v_pk_mul_f16 v54, 0xbbeb, v108 op_sel_hi:[0,1]
	v_add_f16_sdwa v106, v46, v106 dst_sel:DWORD dst_unused:UNUSED_PAD src0_sel:WORD_1 src1_sel:DWORD
	v_add_f16_e32 v98, v46, v98
	v_add_f16_sdwa v86, v46, v86 dst_sel:DWORD dst_unused:UNUSED_PAD src0_sel:WORD_1 src1_sel:DWORD
	v_add_f16_e32 v97, v114, v97
	v_fmamk_f16 v114, v94, 0xbbeb, v110
	v_add_f16_e32 v105, v113, v105
	v_fma_f16 v109, v52, 0xb08e, -v109
	v_pk_fma_f16 v113, 0xb08e, v53, v54 op_sel:[0,0,1] op_sel_hi:[0,1,0]
	v_pk_fma_f16 v54, 0xb08e, v53, v54 op_sel:[0,0,1] op_sel_hi:[0,1,0] neg_lo:[0,0,1] neg_hi:[0,0,1]
	v_fmac_f16_e32 v110, 0x3beb, v94
	v_mul_f16_sdwa v111, v108, v111 dst_sel:DWORD dst_unused:UNUSED_PAD src0_sel:WORD_1 src1_sel:DWORD
	v_add_f16_e32 v106, v114, v106
	v_add_f16_e32 v98, v109, v98
	v_bfi_b32 v109, 0xffff, v113, v54
	v_mul_f16_sdwa v114, v53, v112 dst_sel:DWORD dst_unused:UNUSED_PAD src0_sel:WORD_1 src1_sel:DWORD
	v_add_f16_e32 v86, v110, v86
	v_fmamk_f16 v110, v53, 0xbbad, v111
	v_mov_b32_e32 v116, 0x3b47
	v_pk_add_f16 v104, v109, v104
	v_fmamk_f16 v109, v108, 0xb482, v114
	v_fma_f16 v111, v53, 0xbbad, -v111
	v_add_f16_e32 v100, v110, v100
	v_mul_f16_sdwa v110, v108, v116 dst_sel:DWORD dst_unused:UNUSED_PAD src0_sel:WORD_1 src1_sel:DWORD
	v_mul_f16_sdwa v117, v53, v89 dst_sel:DWORD dst_unused:UNUSED_PAD src0_sel:WORD_1 src1_sel:DWORD
	v_add_f16_e32 v101, v109, v101
	v_add_f16_e32 v88, v111, v88
	v_fmac_f16_e32 v114, 0x3482, v108
	v_fmamk_f16 v109, v53, 0x36a6, v110
	v_fmamk_f16 v111, v108, 0xbb47, v117
	v_mov_b32_e32 v118, 0xb853
	v_mov_b32_e32 v119, 0x3abb
	v_add_f16_e32 v96, v114, v96
	v_add_f16_e32 v102, v109, v102
	;; [unrolled: 1-line block ×3, first 2 shown]
	v_mul_f16_sdwa v109, v108, v118 dst_sel:DWORD dst_unused:UNUSED_PAD src0_sel:WORD_1 src1_sel:DWORD
	v_mul_f16_sdwa v111, v53, v119 dst_sel:DWORD dst_unused:UNUSED_PAD src0_sel:WORD_1 src1_sel:DWORD
	v_pk_add_f16 v114, v48, v51 neg_lo:[0,1] neg_hi:[0,1]
	v_pk_add_f16 v48, v51, v48
	v_fma_f16 v110, v53, 0x36a6, -v110
	v_fmamk_f16 v120, v53, 0x3abb, v109
	v_fmamk_f16 v121, v108, 0x3853, v111
	v_pk_mul_f16 v51, 0xba0c, v114 op_sel_hi:[0,1]
	v_fma_f16 v109, v53, 0x3abb, -v109
	v_mul_f16_sdwa v115, v114, v115 dst_sel:DWORD dst_unused:UNUSED_PAD src0_sel:WORD_1 src1_sel:DWORD
	v_fmac_f16_e32 v111, 0xb853, v108
	v_mul_f16_sdwa v91, v48, v91 dst_sel:DWORD dst_unused:UNUSED_PAD src0_sel:WORD_1 src1_sel:DWORD
	v_fmac_f16_e32 v117, 0x3b47, v108
	v_add_f16_e32 v90, v110, v90
	v_pk_fma_f16 v110, 0xb93d, v48, v51 op_sel:[0,0,1] op_sel_hi:[0,1,0]
	v_pk_fma_f16 v51, 0xb93d, v48, v51 op_sel:[0,0,1] op_sel_hi:[0,1,0] neg_lo:[0,0,1] neg_hi:[0,0,1]
	v_add_f16_e32 v98, v109, v98
	v_fmamk_f16 v109, v48, 0xb08e, v115
	v_add_f16_e32 v86, v111, v86
	v_fmamk_f16 v111, v114, 0xbbeb, v91
	v_add_f16_e32 v97, v117, v97
	v_bfi_b32 v117, 0xffff, v110, v51
	v_fma_f16 v115, v48, 0xb08e, -v115
	v_add_f16_e32 v100, v109, v100
	v_mul_f16_sdwa v109, v114, v118 dst_sel:DWORD dst_unused:UNUSED_PAD src0_sel:WORD_1 src1_sel:DWORD
	v_add_f16_e32 v101, v111, v101
	v_mul_f16_sdwa v111, v48, v119 dst_sel:DWORD dst_unused:UNUSED_PAD src0_sel:WORD_1 src1_sel:DWORD
	v_pk_add_f16 v104, v117, v104
	v_add_f16_e32 v88, v115, v88
	v_fmac_f16_e32 v91, 0x3beb, v114
	v_fmamk_f16 v115, v48, 0x3abb, v109
	v_mov_b32_e32 v117, 0xb482
	v_fmamk_f16 v118, v114, 0x3853, v111
	v_fma_f16 v109, v48, 0x3abb, -v109
	v_fmac_f16_e32 v111, 0xb853, v114
	v_add_f16_e32 v91, v91, v96
	v_add_f16_e32 v96, v115, v102
	v_mul_f16_sdwa v102, v114, v117 dst_sel:DWORD dst_unused:UNUSED_PAD src0_sel:WORD_1 src1_sel:DWORD
	v_add_f16_e32 v90, v109, v90
	v_pk_add_f16 v109, v49, v50 neg_lo:[0,1] neg_hi:[0,1]
	v_add_f16_e32 v97, v111, v97
	v_mov_b32_e32 v111, 0x3853
	v_fmamk_f16 v115, v48, 0xbbad, v102
	v_pk_add_f16 v49, v50, v49
	v_fma_f16 v102, v48, 0xbbad, -v102
	v_add_f16_e32 v105, v120, v105
	v_mul_f16_sdwa v111, v109, v111 dst_sel:DWORD dst_unused:UNUSED_PAD src0_sel:WORD_1 src1_sel:DWORD
	v_add_f16_e32 v103, v118, v103
	v_mul_f16_sdwa v112, v48, v112 dst_sel:DWORD dst_unused:UNUSED_PAD src0_sel:WORD_1 src1_sel:DWORD
	v_pk_mul_f16 v50, 0xb482, v109 op_sel_hi:[0,1]
	v_add_f16_e32 v98, v102, v98
	v_fmamk_f16 v102, v49, 0x3abb, v111
	v_mul_f16_sdwa v118, v49, v119 dst_sel:DWORD dst_unused:UNUSED_PAD src0_sel:WORD_1 src1_sel:DWORD
	v_add_f16_e32 v106, v121, v106
	v_add_f16_e32 v105, v115, v105
	v_fmamk_f16 v115, v114, 0x3482, v112
	v_pk_fma_f16 v117, 0xbbad, v49, v50 op_sel:[0,0,1] op_sel_hi:[0,1,0]
	v_pk_fma_f16 v50, 0xbbad, v49, v50 op_sel:[0,0,1] op_sel_hi:[0,1,0] neg_lo:[0,0,1] neg_hi:[0,0,1]
	v_fmac_f16_e32 v112, 0xb482, v114
	v_mul_f16_sdwa v92, v109, v92 dst_sel:DWORD dst_unused:UNUSED_PAD src0_sel:WORD_1 src1_sel:DWORD
	v_add_f16_e32 v100, v102, v100
	v_fmamk_f16 v102, v109, 0xb853, v118
	v_fma_f16 v111, v49, 0x3abb, -v111
	v_mul_f16_sdwa v93, v49, v93 dst_sel:DWORD dst_unused:UNUSED_PAD src0_sel:WORD_1 src1_sel:DWORD
	v_add_f16_e32 v106, v115, v106
	v_bfi_b32 v115, 0xffff, v117, v50
	v_add_f16_e32 v86, v112, v86
	v_fmamk_f16 v112, v49, 0xb93d, v92
	v_add_f16_e32 v101, v102, v101
	v_add_f16_e32 v88, v111, v88
	v_fmamk_f16 v102, v109, 0x3a0c, v93
	v_fma_f16 v92, v49, 0xb93d, -v92
	v_fmac_f16_e32 v93, 0xba0c, v109
	v_mul_f16_sdwa v111, v109, v116 dst_sel:DWORD dst_unused:UNUSED_PAD src0_sel:WORD_1 src1_sel:DWORD
	v_pk_add_f16 v104, v115, v104
	v_pk_mul_f16 v87, 0xbbad, v87 op_sel_hi:[0,1]
	v_add_f16_e32 v90, v92, v90
	v_add_f16_e32 v92, v93, v97
	v_fmamk_f16 v93, v49, 0x36a6, v111
	s_barrier
	buffer_gl0_inv
	v_mul_f16_sdwa v89, v49, v89 dst_sel:DWORD dst_unused:UNUSED_PAD src0_sel:WORD_1 src1_sel:DWORD
	v_add_f16_e32 v93, v93, v105
	v_pk_fma_f16 v105, 0xb482, v47, v87 op_sel:[0,0,1] op_sel_hi:[0,1,0]
	ds_write2_b32 v70, v44, v104 offset1:1
	v_pk_mul_f16 v44, 0x3abb, v52 op_sel_hi:[0,1]
	v_add_f16_e32 v96, v112, v96
	v_add_f16_e32 v102, v102, v103
	v_fmamk_f16 v97, v109, 0xbb47, v89
	v_fmac_f16_e32 v89, 0x3b47, v109
	v_alignbit_b32 v52, s0, v105, 16
	v_pk_fma_f16 v47, 0xb482, v47, v87 op_sel:[0,0,1] op_sel_hi:[0,1,0] neg_lo:[0,1,0] neg_hi:[0,1,0]
	v_pk_fma_f16 v87, 0x3853, v94, v44 op_sel:[0,0,1] op_sel_hi:[0,1,0]
	v_pk_mul_f16 v53, 0xb93d, v53 op_sel_hi:[0,1]
	v_add_f16_e32 v86, v89, v86
	v_pack_b32_f16 v89, v96, v102
	v_pack_b32_f16 v96, v100, v101
	v_pk_add_f16 v52, v46, v52
	v_alignbit_b32 v100, s0, v46, 16
	v_pk_add_f16 v47, v46, v47 op_sel:[1,0] op_sel_hi:[0,1]
	v_alignbit_b32 v101, s0, v87, 16
	v_pk_fma_f16 v44, 0x3853, v94, v44 op_sel:[0,0,1] op_sel_hi:[0,1,0] neg_lo:[0,1,0] neg_hi:[0,1,0]
	v_pk_fma_f16 v94, 0xba0c, v108, v53 op_sel:[0,0,1] op_sel_hi:[0,1,0]
	v_pk_mul_f16 v48, 0x36a6, v48 op_sel_hi:[0,1]
	v_pk_add_f16 v100, v100, v105
	v_pk_add_f16 v52, v101, v52
	;; [unrolled: 1-line block ×3, first 2 shown]
	v_alignbit_b32 v47, s0, v94, 16
	v_pk_fma_f16 v101, 0x3b47, v114, v48 op_sel:[0,0,1] op_sel_hi:[0,1,0]
	v_pk_fma_f16 v53, 0xba0c, v108, v53 op_sel:[0,0,1] op_sel_hi:[0,1,0] neg_lo:[0,1,0] neg_hi:[0,1,0]
	v_bfi_b32 v95, 0xffff, v95, v99
	v_fma_f16 v103, v49, 0x36a6, -v111
	v_pk_add_f16 v87, v87, v100
	v_pk_add_f16 v47, v47, v52
	v_alignbit_b32 v52, s0, v101, 16
	v_pk_mul_f16 v49, 0xb08e, v49 op_sel_hi:[0,1]
	v_pk_add_f16 v44, v53, v44
	v_pk_add_f16 v46, v46, v95
	v_bfi_b32 v53, 0xffff, v55, v107
	v_pk_add_f16 v55, v94, v87
	v_pk_fma_f16 v48, 0x3b47, v114, v48 op_sel:[0,0,1] op_sel_hi:[0,1,0] neg_lo:[0,1,0] neg_hi:[0,1,0]
	v_pk_add_f16 v47, v52, v47
	v_pk_fma_f16 v52, 0xbbeb, v109, v49 op_sel:[0,0,1] op_sel_hi:[0,1,0]
	v_pk_add_f16 v46, v53, v46
	v_bfi_b32 v53, 0xffff, v54, v113
	v_pk_add_f16 v44, v48, v44
	v_pk_fma_f16 v48, 0xbbeb, v109, v49 op_sel:[0,0,1] op_sel_hi:[0,1,0] neg_lo:[0,1,0] neg_hi:[0,1,0]
	v_pk_add_f16 v49, v101, v55
	v_alignbit_b32 v54, s0, v52, 16
	v_fmac_f16_e32 v118, 0x3853, v109
	v_pk_add_f16 v46, v53, v46
	v_bfi_b32 v51, 0xffff, v51, v110
	v_add_f16_e32 v97, v97, v106
	v_pk_add_f16 v44, v48, v44
	v_pk_add_f16 v48, v52, v49
	;; [unrolled: 1-line block ×3, first 2 shown]
	v_add_f16_e32 v98, v103, v98
	v_add_f16_e32 v91, v118, v91
	v_pk_add_f16 v46, v51, v46
	v_bfi_b32 v50, 0xffff, v50, v117
	v_pack_b32_f16 v49, v93, v97
	v_alignbit_b32 v48, v48, v44, 16
	v_pack_b32_f16 v44, v47, v44
	v_pack_b32_f16 v47, v90, v92
	v_pack_b32_f16 v51, v98, v86
	v_pk_add_f16 v46, v50, v46
	v_pack_b32_f16 v50, v88, v91
	ds_write2_b32 v70, v96, v89 offset0:2 offset1:3
	ds_write_b32 v70, v49 offset:16
	ds_write2_b32 v70, v44, v48 offset0:5 offset1:6
	ds_write2_b32 v70, v51, v47 offset0:7 offset1:8
	;; [unrolled: 1-line block ×3, first 2 shown]
	s_and_saveexec_b32 s0, vcc_lo
	s_cbranch_execz .LBB0_13
; %bb.12:
	v_add_f16_sdwa v44, v30, v84 dst_sel:DWORD dst_unused:UNUSED_PAD src0_sel:WORD_1 src1_sel:DWORD
	v_sub_f16_e32 v46, v45, v71
	v_add_f16_e32 v47, v72, v85
	v_sub_f16_e32 v48, v41, v26
	v_add_f16_e32 v49, v73, v83
	v_mul_f16_e32 v50, 0xbbad, v44
	v_sub_f16_e32 v51, v43, v25
	v_mul_f16_e32 v54, 0x3abb, v47
	v_sub_f16_sdwa v86, v84, v30 dst_sel:DWORD dst_unused:UNUSED_PAD src0_sel:DWORD src1_sel:WORD_1
	v_mul_f16_e32 v87, 0xb93d, v49
	v_fmamk_f16 v55, v46, 0x3482, v50
	v_add_f16_e32 v70, v71, v45
	v_fmamk_f16 v88, v48, 0xb853, v54
	v_sub_f16_e32 v89, v85, v72
	v_fmamk_f16 v92, v51, 0x3a0c, v87
	v_add_f16_e32 v55, v82, v55
	v_mul_f16_e32 v121, 0xbbeb, v86
	v_add_f16_e32 v98, v25, v43
	v_mul_f16_e32 v126, 0x3482, v89
	v_sub_f16_e32 v101, v76, v77
	v_add_f16_e32 v55, v88, v55
	v_add_f16_e32 v88, v26, v41
	v_fmamk_f16 v125, v70, 0xb08e, v121
	v_add_f16_e32 v103, v28, v29
	v_mul_f16_e32 v131, 0xb853, v101
	v_add_f16_e32 v55, v92, v55
	v_sub_f16_e32 v92, v83, v73
	v_add_f16_e32 v125, v42, v125
	v_fmamk_f16 v128, v88, 0xbbad, v126
	v_add_f16_e32 v45, v45, v42
	v_add_f16_e32 v84, v84, v82
	v_mul_f16_e32 v129, 0x3b47, v92
	v_add_f16_e32 v52, v77, v76
	v_add_f16_e32 v125, v128, v125
	;; [unrolled: 1-line block ×4, first 2 shown]
	v_fmamk_f16 v128, v98, 0x36a6, v129
	v_mul_f16_e32 v91, 0xb482, v86
	v_sub_f16_e32 v53, v29, v28
	v_mul_f16_e32 v90, 0x36a6, v52
	v_add_f16_e32 v96, v79, v80
	v_add_f16_e32 v125, v128, v125
	v_fmamk_f16 v128, v103, 0x3abb, v131
	v_mul_f16_e32 v109, 0xba0c, v86
	v_add_f16_e32 v41, v43, v41
	v_add_f16_e32 v43, v83, v45
	v_mul_f16_e32 v93, 0x3853, v89
	v_add_f16_e32 v125, v128, v125
	v_mul_f16_e32 v128, 0xbb47, v86
	v_mul_f16_e32 v86, 0xb853, v86
	v_fmamk_f16 v94, v70, 0xbbad, v91
	v_fmamk_f16 v95, v53, 0xbb47, v90
	v_mul_f16_e32 v100, 0xb08e, v96
	v_sub_f16_e32 v102, v30, v27
	v_fmamk_f16 v84, v70, 0x3abb, v86
	v_mul_f16_e32 v85, 0xbb47, v89
	v_add_f16_e32 v29, v29, v41
	v_add_f16_e32 v41, v76, v43
	;; [unrolled: 1-line block ×3, first 2 shown]
	v_fmamk_f16 v97, v88, 0x3abb, v93
	v_mul_f16_e32 v99, 0xba0c, v92
	v_add_f16_e32 v55, v95, v55
	v_fmamk_f16 v95, v102, 0x3beb, v100
	v_add_f16_e32 v45, v42, v84
	v_fmamk_f16 v83, v88, 0x36a6, v85
	v_mul_f16_e32 v84, 0xbbeb, v92
	v_add_f16_e32 v29, v30, v29
	v_add_f16_e32 v41, v80, v41
	v_add_f16_e32 v94, v97, v94
	v_fmamk_f16 v97, v98, 0xb93d, v99
	v_mul_f16_e32 v104, 0x3b47, v101
	v_add_f16_e32 v55, v95, v55
	v_sub_f16_e32 v95, v80, v79
	v_add_f16_e32 v107, v27, v30
	v_add_f16_e32 v45, v83, v45
	v_fmamk_f16 v76, v98, 0xb08e, v84
	v_mul_f16_e32 v83, 0xba0c, v101
	v_add_f16_e32 v27, v27, v29
	v_add_f16_e32 v29, v79, v41
	;; [unrolled: 1-line block ×3, first 2 shown]
	v_fmamk_f16 v97, v103, 0x36a6, v104
	v_mul_f16_e32 v105, 0xb93d, v44
	v_add_f16_e32 v45, v76, v45
	v_fmamk_f16 v41, v103, 0xb93d, v83
	v_mul_f16_e32 v76, 0xb482, v95
	v_add_f16_e32 v27, v28, v27
	v_add_f16_e32 v28, v77, v29
	;; [unrolled: 1-line block ×3, first 2 shown]
	v_fmamk_f16 v97, v46, 0x3a0c, v105
	v_mul_f16_e32 v106, 0xb08e, v47
	v_add_f16_e32 v41, v41, v45
	v_fmamk_f16 v45, v107, 0xbbad, v76
	v_add_f16_e32 v25, v25, v27
	v_add_f16_e32 v27, v73, v28
	;; [unrolled: 1-line block ×3, first 2 shown]
	v_fmamk_f16 v110, v48, 0xbbeb, v106
	v_mul_f16_e32 v111, 0x3abb, v49
	v_add_f16_e32 v25, v26, v25
	v_add_f16_e32 v26, v45, v41
	;; [unrolled: 1-line block ×3, first 2 shown]
	v_fma_f16 v41, v70, 0xbbad, -v91
	v_add_f16_e32 v97, v110, v97
	v_fmamk_f16 v110, v51, 0x3853, v111
	v_mul_f16_e32 v115, 0xbbad, v52
	v_add_f16_sdwa v27, v30, v27 dst_sel:DWORD dst_unused:UNUSED_PAD src0_sel:WORD_1 src1_sel:DWORD
	v_add_f16_e32 v30, v42, v41
	v_fma_f16 v41, v88, 0x3abb, -v93
	v_mul_f16_e32 v108, 0xbbeb, v95
	v_add_f16_e32 v97, v110, v97
	v_fmamk_f16 v110, v53, 0x3482, v115
	v_mul_f16_e32 v118, 0x36a6, v96
	v_add_f16_e32 v30, v41, v30
	v_fma_f16 v41, v98, 0xb93d, -v99
	v_fmamk_f16 v112, v107, 0xb08e, v108
	v_fmamk_f16 v113, v70, 0xb93d, v109
	v_mul_f16_e32 v114, 0x3beb, v89
	v_add_f16_e32 v97, v110, v97
	v_fmamk_f16 v110, v102, 0xbb47, v118
	v_mul_f16_e32 v120, 0xb08e, v44
	v_add_f16_e32 v30, v41, v30
	v_fma_f16 v41, v103, 0x36a6, -v104
	v_add_f16_e32 v113, v42, v113
	v_fmamk_f16 v116, v88, 0xb08e, v114
	v_mul_f16_e32 v117, 0xb853, v92
	v_add_f16_e32 v94, v112, v94
	v_add_f16_e32 v97, v110, v97
	v_fmamk_f16 v110, v46, 0x3beb, v120
	v_mul_f16_e32 v112, 0xbbad, v47
	v_add_f16_e32 v30, v41, v30
	v_fma_f16 v41, v107, 0xb08e, -v108
	v_add_f16_e32 v113, v116, v113
	v_fmamk_f16 v116, v98, 0x3abb, v117
	v_mul_f16_e32 v119, 0xb482, v101
	v_add_f16_e32 v110, v82, v110
	v_fmamk_f16 v122, v48, 0xb482, v112
	v_mul_f16_e32 v123, 0x36a6, v49
	v_add_f16_e32 v30, v41, v30
	v_fma_f16 v41, v70, 0xb08e, -v121
	v_add_f16_e32 v113, v116, v113
	v_fmamk_f16 v116, v103, 0xbbad, v119
	v_add_f16_e32 v110, v122, v110
	v_fmamk_f16 v122, v51, 0xbb47, v123
	v_mul_f16_e32 v127, 0x3abb, v52
	v_fmamk_f16 v136, v70, 0x36a6, v128
	v_mul_f16_e32 v137, 0xba0c, v89
	v_fmac_f16_e32 v50, 0xb482, v46
	v_add_f16_e32 v25, v71, v25
	v_add_f16_e32 v41, v42, v41
	v_fma_f16 v71, v88, 0xbbad, -v126
	v_add_f16_e32 v113, v116, v113
	v_mul_f16_e32 v116, 0x3b47, v95
	v_add_f16_e32 v110, v122, v110
	v_fmamk_f16 v122, v53, 0x3853, v127
	v_add_f16_e32 v136, v42, v136
	v_fmamk_f16 v139, v88, 0xb93d, v137
	v_mul_f16_e32 v140, 0x3482, v92
	v_add_f16_e32 v29, v82, v50
	v_fmac_f16_e32 v54, 0x3853, v48
	v_fma_f16 v50, v70, 0xb93d, -v109
	v_add_f16_e32 v41, v71, v41
	v_fma_f16 v71, v98, 0x36a6, -v129
	v_fmamk_f16 v124, v107, 0x36a6, v116
	v_mul_f16_e32 v130, 0xb93d, v96
	v_add_f16_e32 v110, v122, v110
	v_mul_f16_e32 v122, 0x36a6, v44
	v_add_f16_e32 v136, v139, v136
	v_fmamk_f16 v139, v98, 0xbbad, v140
	v_mul_f16_e32 v142, 0x3beb, v101
	v_mul_f16_e32 v44, 0x3abb, v44
	;; [unrolled: 1-line block ×3, first 2 shown]
	v_add_f16_e32 v28, v54, v29
	v_add_f16_e32 v50, v42, v50
	v_fma_f16 v54, v88, 0xb08e, -v114
	v_add_f16_e32 v41, v71, v41
	v_fma_f16 v71, v103, 0x3abb, -v131
	v_fmamk_f16 v132, v102, 0x3a0c, v130
	v_add_f16_e32 v113, v124, v113
	v_fmamk_f16 v124, v46, 0x3b47, v122
	v_mul_f16_e32 v133, 0xb93d, v47
	v_add_f16_e32 v136, v139, v136
	v_fmamk_f16 v139, v103, 0xb08e, v142
	v_mul_f16_e32 v143, 0x3853, v95
	v_fmamk_f16 v144, v46, 0x3853, v44
	v_mul_f16_e32 v47, 0x36a6, v47
	v_add_f16_e32 v50, v54, v50
	v_fma_f16 v54, v98, 0x3abb, -v117
	v_add_f16_e32 v41, v71, v41
	v_fma_f16 v71, v107, 0xb93d, -v135
	v_add_f16_e32 v110, v132, v110
	v_add_f16_e32 v124, v82, v124
	v_fmamk_f16 v132, v48, 0x3a0c, v133
	v_mul_f16_e32 v134, 0xbbad, v49
	v_fmamk_f16 v141, v107, 0xb93d, v135
	v_add_f16_e32 v136, v139, v136
	v_fmamk_f16 v139, v107, 0x3abb, v143
	v_add_f16_e32 v144, v82, v144
	v_fmamk_f16 v146, v48, 0x3b47, v47
	v_mul_f16_e32 v49, 0xb08e, v49
	v_fmac_f16_e32 v105, 0xba0c, v46
	v_add_f16_e32 v50, v54, v50
	v_fma_f16 v54, v103, 0xbbad, -v119
	v_fmac_f16_e32 v120, 0xbbeb, v46
	v_fmac_f16_e32 v122, 0xbb47, v46
	v_add_f16_e32 v41, v71, v41
	v_fma_f16 v71, v70, 0x36a6, -v128
	v_fmac_f16_e32 v44, 0xb853, v46
	v_fma_f16 v46, v70, 0x3abb, -v86
	v_add_f16_e32 v124, v132, v124
	v_fmamk_f16 v132, v51, 0xb482, v134
	v_mul_f16_e32 v138, 0xb08e, v52
	v_add_f16_e32 v125, v141, v125
	v_add_f16_e32 v136, v139, v136
	;; [unrolled: 1-line block ×3, first 2 shown]
	v_fmamk_f16 v141, v51, 0x3beb, v49
	v_mul_f16_e32 v52, 0xb93d, v52
	v_add_f16_e32 v45, v82, v105
	v_fmac_f16_e32 v106, 0x3beb, v48
	v_add_f16_e32 v50, v54, v50
	v_add_f16_e32 v54, v82, v120
	v_fmac_f16_e32 v112, 0x3482, v48
	v_add_f16_e32 v73, v82, v122
	v_fmac_f16_e32 v133, 0xba0c, v48
	v_add_f16_e32 v70, v42, v71
	v_fma_f16 v71, v88, 0xb93d, -v137
	v_add_f16_e32 v44, v82, v44
	v_fmac_f16_e32 v47, 0xbb47, v48
	v_add_f16_e32 v42, v42, v46
	v_fma_f16 v46, v88, 0x36a6, -v85
	v_add_f16_e32 v124, v132, v124
	v_fmamk_f16 v132, v53, 0xbbeb, v138
	v_add_f16_e32 v139, v141, v139
	v_fmamk_f16 v141, v53, 0x3a0c, v52
	v_mul_f16_e32 v43, 0xbbad, v96
	v_fmac_f16_e32 v87, 0xba0c, v51
	v_add_f16_e32 v45, v106, v45
	v_fmac_f16_e32 v111, 0xb853, v51
	v_add_f16_e32 v54, v112, v54
	v_fmac_f16_e32 v123, 0x3b47, v51
	v_add_f16_e32 v73, v133, v73
	v_fmac_f16_e32 v134, 0x3482, v51
	v_add_f16_e32 v48, v71, v70
	v_fma_f16 v70, v98, 0xbbad, -v140
	v_add_f16_e32 v44, v47, v44
	v_fmac_f16_e32 v49, 0xbbeb, v51
	v_add_f16_e32 v42, v46, v42
	v_fma_f16 v46, v98, 0xb08e, -v84
	v_add_f16_e32 v124, v132, v124
	v_mul_f16_e32 v132, 0x3abb, v96
	v_add_f16_e32 v89, v141, v139
	v_fmamk_f16 v80, v102, 0x3482, v43
	v_add_f16_e32 v28, v87, v28
	v_fmac_f16_e32 v90, 0x3b47, v53
	v_add_f16_e32 v45, v111, v45
	v_fmac_f16_e32 v115, 0xb482, v53
	v_fma_f16 v72, v107, 0x36a6, -v116
	v_add_f16_e32 v54, v123, v54
	v_fmac_f16_e32 v127, 0xb853, v53
	v_add_f16_e32 v73, v134, v73
	v_fmac_f16_e32 v138, 0x3beb, v53
	v_add_f16_e32 v47, v70, v48
	v_fma_f16 v48, v103, 0xb08e, -v142
	v_add_f16_e32 v44, v49, v44
	v_fmac_f16_e32 v52, 0xba0c, v53
	v_add_f16_e32 v42, v46, v42
	v_fma_f16 v46, v103, 0xb93d, -v83
	v_fmamk_f16 v145, v102, 0xb853, v132
	v_add_f16_e32 v29, v80, v89
	v_add_f16_e32 v28, v90, v28
	v_fmac_f16_e32 v100, 0xbbeb, v102
	v_add_f16_e32 v45, v115, v45
	v_fmac_f16_e32 v118, 0x3b47, v102
	;; [unrolled: 2-line block ×3, first 2 shown]
	v_add_f16_e32 v50, v72, v50
	v_add_f16_e32 v72, v138, v73
	v_fmac_f16_e32 v132, 0x3853, v102
	v_add_f16_e32 v47, v48, v47
	v_fma_f16 v48, v107, 0x3abb, -v143
	v_add_f16_e32 v44, v52, v44
	v_fmac_f16_e32 v43, 0xb482, v102
	v_add_f16_e32 v42, v46, v42
	v_fma_f16 v46, v107, 0xbbad, -v76
	v_add_f16_e32 v124, v145, v124
	v_lshlrev_b32_e32 v49, 2, v69
	v_pack_b32_f16 v26, v26, v29
	v_pack_b32_f16 v25, v25, v27
	v_add_f16_e32 v28, v100, v28
	v_add_f16_e32 v45, v118, v45
	;; [unrolled: 1-line block ×7, first 2 shown]
	ds_write2_b32 v49, v25, v26 offset1:1
	v_pack_b32_f16 v25, v125, v110
	v_pack_b32_f16 v26, v136, v124
	;; [unrolled: 1-line block ×9, first 2 shown]
	ds_write2_b32 v49, v26, v25 offset0:2 offset1:3
	ds_write2_b32 v49, v46, v44 offset0:4 offset1:5
	ds_write2_b32 v49, v28, v45 offset0:6 offset1:7
	ds_write2_b32 v49, v29, v27 offset0:8 offset1:9
	ds_write_b32 v49, v30 offset:40
.LBB0_13:
	s_or_b32 exec_lo, exec_lo, s0
	s_waitcnt lgkmcnt(0)
	s_barrier
	buffer_gl0_inv
	ds_read2_b32 v[41:42], v56 offset0:110 offset1:165
	v_add_nc_u32_e32 v26, 0x400, v56
	v_add_nc_u32_e32 v25, 0x800, v56
	;; [unrolled: 1-line block ×3, first 2 shown]
	ds_read2_b32 v[28:29], v56 offset1:55
	ds_read2_b32 v[43:44], v26 offset0:74 offset1:129
	ds_read2_b32 v[45:46], v26 offset0:184 offset1:239
	ds_read2_b32 v[47:48], v25 offset0:148 offset1:203
	ds_read2_b32 v[49:50], v27 offset0:92 offset1:147
	ds_read2_b32 v[51:52], v25 offset0:38 offset1:93
	ds_read_b32 v30, v56 offset:3080
	s_waitcnt lgkmcnt(0)
	s_barrier
	buffer_gl0_inv
	s_mov_b32 s4, 0x3dc013dc
	s_mov_b32 s5, 0x3f53dc01
	v_lshrrev_b32_e32 v54, 16, v42
	v_lshrrev_b32_e32 v70, 16, v43
	;; [unrolled: 1-line block ×5, first 2 shown]
	v_mul_f16_sdwa v85, v8, v54 dst_sel:DWORD dst_unused:UNUSED_PAD src0_sel:WORD_1 src1_sel:DWORD
	v_lshrrev_b32_e32 v76, 16, v44
	v_mul_f16_sdwa v86, v8, v42 dst_sel:DWORD dst_unused:UNUSED_PAD src0_sel:WORD_1 src1_sel:DWORD
	v_mul_f16_sdwa v87, v9, v70 dst_sel:DWORD dst_unused:UNUSED_PAD src0_sel:WORD_1 src1_sel:DWORD
	;; [unrolled: 1-line block ×4, first 2 shown]
	v_fmac_f16_e32 v85, v8, v42
	v_mul_f16_sdwa v42, v10, v46 dst_sel:DWORD dst_unused:UNUSED_PAD src0_sel:WORD_1 src1_sel:DWORD
	v_lshrrev_b32_e32 v77, 16, v51
	v_lshrrev_b32_e32 v79, 16, v48
	v_fma_f16 v8, v8, v54, -v86
	v_fmac_f16_e32 v87, v9, v43
	v_fma_f16 v9, v9, v70, -v88
	v_fmac_f16_e32 v89, v10, v46
	v_mul_f16_sdwa v43, v11, v72 dst_sel:DWORD dst_unused:UNUSED_PAD src0_sel:WORD_1 src1_sel:DWORD
	v_mul_f16_sdwa v46, v11, v47 dst_sel:DWORD dst_unused:UNUSED_PAD src0_sel:WORD_1 src1_sel:DWORD
	;; [unrolled: 1-line block ×4, first 2 shown]
	v_fma_f16 v10, v10, v71, -v42
	v_mul_f16_sdwa v42, v5, v76 dst_sel:DWORD dst_unused:UNUSED_PAD src0_sel:WORD_1 src1_sel:DWORD
	v_lshrrev_b32_e32 v80, 16, v50
	v_lshrrev_b32_e32 v82, 16, v45
	v_fmac_f16_e32 v43, v11, v47
	v_fma_f16 v11, v11, v72, -v46
	v_fmac_f16_e32 v54, v4, v49
	v_fma_f16 v4, v4, v73, -v70
	v_mul_f16_sdwa v46, v5, v44 dst_sel:DWORD dst_unused:UNUSED_PAD src0_sel:WORD_1 src1_sel:DWORD
	v_mul_f16_sdwa v47, v6, v77 dst_sel:DWORD dst_unused:UNUSED_PAD src0_sel:WORD_1 src1_sel:DWORD
	;; [unrolled: 1-line block ×4, first 2 shown]
	v_fmac_f16_e32 v42, v5, v44
	v_mul_f16_sdwa v44, v7, v48 dst_sel:DWORD dst_unused:UNUSED_PAD src0_sel:WORD_1 src1_sel:DWORD
	v_lshrrev_b32_e32 v83, 16, v52
	v_fma_f16 v5, v5, v76, -v46
	v_fmac_f16_e32 v47, v6, v51
	v_fma_f16 v6, v6, v77, -v49
	v_fmac_f16_e32 v70, v7, v48
	v_mul_f16_sdwa v46, v0, v80 dst_sel:DWORD dst_unused:UNUSED_PAD src0_sel:WORD_1 src1_sel:DWORD
	v_mul_f16_sdwa v48, v0, v50 dst_sel:DWORD dst_unused:UNUSED_PAD src0_sel:WORD_1 src1_sel:DWORD
	;; [unrolled: 1-line block ×4, first 2 shown]
	v_fma_f16 v7, v7, v79, -v44
	v_add_f16_e32 v44, v87, v89
	v_lshrrev_b32_e32 v84, 16, v30
	v_fmac_f16_e32 v46, v0, v50
	v_fma_f16 v0, v0, v80, -v48
	v_fmac_f16_e32 v49, v1, v45
	v_fma_f16 v1, v1, v82, -v51
	v_mul_f16_sdwa v45, v2, v83 dst_sel:DWORD dst_unused:UNUSED_PAD src0_sel:WORD_1 src1_sel:DWORD
	v_mul_f16_sdwa v48, v2, v52 dst_sel:DWORD dst_unused:UNUSED_PAD src0_sel:WORD_1 src1_sel:DWORD
	v_add_f16_e32 v51, v28, v85
	v_fma_f16 v44, -0.5, v44, v28
	v_sub_f16_e32 v71, v8, v11
	v_lshrrev_b32_e32 v53, 16, v28
	v_mul_f16_sdwa v50, v3, v84 dst_sel:DWORD dst_unused:UNUSED_PAD src0_sel:WORD_1 src1_sel:DWORD
	v_fmac_f16_e32 v45, v2, v52
	v_fma_f16 v2, v2, v83, -v48
	v_add_f16_e32 v48, v51, v87
	v_fmamk_f16 v51, v71, 0xbb9c, v44
	v_sub_f16_e32 v52, v9, v10
	v_sub_f16_e32 v72, v85, v87
	;; [unrolled: 1-line block ×3, first 2 shown]
	v_add_f16_e32 v76, v85, v43
	v_fmac_f16_e32 v44, 0x3b9c, v71
	v_fmac_f16_e32 v50, v3, v30
	v_mul_f16_sdwa v30, v3, v30 dst_sel:DWORD dst_unused:UNUSED_PAD src0_sel:WORD_1 src1_sel:DWORD
	v_add_f16_e32 v48, v48, v89
	v_fmac_f16_e32 v51, 0xb8b4, v52
	v_add_f16_e32 v72, v72, v73
	v_fma_f16 v28, -0.5, v76, v28
	v_sub_f16_e32 v73, v87, v85
	v_sub_f16_e32 v76, v89, v43
	v_fmac_f16_e32 v44, 0x38b4, v52
	v_add_f16_e32 v77, v53, v8
	v_add_f16_e32 v79, v9, v10
	v_fma_f16 v3, v3, v84, -v30
	v_add_f16_e32 v30, v48, v43
	v_fmac_f16_e32 v51, 0x34f2, v72
	v_fmamk_f16 v48, v52, 0x3b9c, v28
	v_add_f16_e32 v73, v73, v76
	v_fmac_f16_e32 v28, 0xbb9c, v52
	v_add_f16_e32 v52, v77, v9
	v_fma_f16 v76, -0.5, v79, v53
	v_sub_f16_e32 v43, v85, v43
	v_fmac_f16_e32 v44, 0x34f2, v72
	v_add_f16_e32 v72, v8, v11
	v_sub_f16_e32 v79, v8, v9
	v_sub_f16_e32 v8, v9, v8
	;; [unrolled: 1-line block ×3, first 2 shown]
	v_fmac_f16_e32 v48, 0xb8b4, v71
	v_fmac_f16_e32 v28, 0x38b4, v71
	v_add_f16_e32 v52, v52, v10
	v_fmamk_f16 v71, v43, 0x3b9c, v76
	v_sub_f16_e32 v77, v87, v89
	v_sub_f16_e32 v80, v11, v10
	v_fmac_f16_e32 v53, -0.5, v72
	v_fmac_f16_e32 v76, 0xbb9c, v43
	v_add_f16_e32 v10, v42, v47
	v_add_f16_e32 v8, v8, v9
	;; [unrolled: 1-line block ×3, first 2 shown]
	v_lshrrev_b32_e32 v55, 16, v29
	v_fmac_f16_e32 v48, 0x34f2, v73
	v_fmac_f16_e32 v28, 0x34f2, v73
	v_add_f16_e32 v52, v52, v11
	v_fmac_f16_e32 v71, 0x38b4, v77
	v_add_f16_e32 v72, v79, v80
	v_fmamk_f16 v73, v77, 0xbb9c, v53
	v_fmac_f16_e32 v76, 0xb8b4, v77
	v_fma_f16 v10, -0.5, v10, v29
	v_sub_f16_e32 v11, v4, v7
	v_fmac_f16_e32 v53, 0x3b9c, v77
	v_add_f16_e32 v9, v9, v42
	v_sub_f16_e32 v79, v54, v42
	v_sub_f16_e32 v80, v70, v47
	v_add_f16_e32 v82, v54, v70
	v_fmac_f16_e32 v71, 0x34f2, v72
	v_fmac_f16_e32 v73, 0x38b4, v43
	;; [unrolled: 1-line block ×3, first 2 shown]
	v_fmamk_f16 v72, v11, 0xbb9c, v10
	v_sub_f16_e32 v77, v5, v6
	v_fmac_f16_e32 v53, 0xb8b4, v43
	v_add_f16_e32 v9, v9, v47
	v_add_f16_e32 v43, v79, v80
	v_fmac_f16_e32 v29, -0.5, v82
	v_fmac_f16_e32 v10, 0x3b9c, v11
	v_sub_f16_e32 v79, v42, v54
	v_sub_f16_e32 v80, v47, v70
	v_add_f16_e32 v82, v55, v4
	v_add_f16_e32 v83, v5, v6
	v_fmac_f16_e32 v73, 0x34f2, v8
	v_fmac_f16_e32 v72, 0xb8b4, v77
	v_fmac_f16_e32 v53, 0x34f2, v8
	v_add_f16_e32 v8, v9, v70
	v_fmamk_f16 v9, v77, 0x3b9c, v29
	v_fmac_f16_e32 v10, 0x38b4, v77
	v_add_f16_e32 v79, v79, v80
	v_fmac_f16_e32 v29, 0xbb9c, v77
	v_add_f16_e32 v77, v82, v5
	v_fma_f16 v80, -0.5, v83, v55
	v_sub_f16_e32 v54, v54, v70
	v_add_f16_e32 v70, v4, v7
	v_fmac_f16_e32 v72, 0x34f2, v43
	v_fmac_f16_e32 v9, 0xb8b4, v11
	;; [unrolled: 1-line block ×4, first 2 shown]
	v_add_f16_e32 v11, v77, v6
	v_fmamk_f16 v43, v54, 0x3b9c, v80
	v_sub_f16_e32 v42, v42, v47
	v_sub_f16_e32 v47, v4, v5
	;; [unrolled: 1-line block ×3, first 2 shown]
	v_fmac_f16_e32 v55, -0.5, v70
	v_fmac_f16_e32 v80, 0xbb9c, v54
	v_sub_f16_e32 v4, v5, v4
	v_sub_f16_e32 v5, v6, v7
	v_add_f16_e32 v6, v49, v45
	v_add_f16_e32 v11, v11, v7
	v_fmac_f16_e32 v43, 0x38b4, v42
	v_add_f16_e32 v47, v47, v77
	v_fmamk_f16 v70, v42, 0xbb9c, v55
	v_fmac_f16_e32 v80, 0xb8b4, v42
	v_add_f16_e32 v4, v4, v5
	v_fmac_f16_e32 v55, 0x3b9c, v42
	v_add_f16_e32 v5, v41, v46
	v_fma_f16 v6, -0.5, v6, v41
	v_sub_f16_e32 v7, v0, v3
	v_fmac_f16_e32 v9, 0x34f2, v79
	v_fmac_f16_e32 v29, 0x34f2, v79
	;; [unrolled: 1-line block ×6, first 2 shown]
	v_add_f16_e32 v5, v5, v49
	v_fmamk_f16 v42, v7, 0xbb9c, v6
	v_sub_f16_e32 v47, v1, v2
	v_sub_f16_e32 v54, v46, v49
	;; [unrolled: 1-line block ×3, first 2 shown]
	v_fmac_f16_e32 v6, 0x3b9c, v7
	v_add_f16_e32 v79, v46, v50
	v_lshrrev_b32_e32 v69, 16, v41
	v_add_f16_e32 v5, v5, v45
	v_fmac_f16_e32 v42, 0xb8b4, v47
	v_add_f16_e32 v54, v54, v77
	v_fmac_f16_e32 v6, 0x38b4, v47
	v_fmac_f16_e32 v41, -0.5, v79
	v_sub_f16_e32 v77, v49, v46
	v_sub_f16_e32 v79, v45, v50
	v_fmac_f16_e32 v70, 0x34f2, v4
	v_fmac_f16_e32 v55, 0x34f2, v4
	v_add_f16_e32 v4, v5, v50
	v_fmac_f16_e32 v42, 0x34f2, v54
	v_fmac_f16_e32 v6, 0x34f2, v54
	v_fmamk_f16 v5, v47, 0x3b9c, v41
	v_add_f16_e32 v54, v1, v2
	v_fmac_f16_e32 v41, 0xbb9c, v47
	v_sub_f16_e32 v46, v46, v50
	v_add_f16_e32 v50, v77, v79
	v_add_f16_e32 v77, v0, v3
	v_add_f16_e32 v47, v69, v0
	v_fma_f16 v54, -0.5, v54, v69
	v_fmac_f16_e32 v5, 0xb8b4, v7
	v_fmac_f16_e32 v41, 0x38b4, v7
	v_sub_f16_e32 v45, v49, v45
	v_fmac_f16_e32 v69, -0.5, v77
	v_add_f16_e32 v7, v47, v1
	v_fmamk_f16 v47, v46, 0x3b9c, v54
	v_fmac_f16_e32 v5, 0x34f2, v50
	v_fmac_f16_e32 v41, 0x34f2, v50
	v_sub_f16_e32 v49, v0, v1
	v_sub_f16_e32 v50, v3, v2
	v_fmac_f16_e32 v54, 0xbb9c, v46
	v_fmamk_f16 v77, v45, 0xbb9c, v69
	v_sub_f16_e32 v0, v1, v0
	v_sub_f16_e32 v1, v2, v3
	v_fmac_f16_e32 v69, 0x3b9c, v45
	v_add_f16_e32 v7, v7, v2
	v_fmac_f16_e32 v47, 0x38b4, v45
	v_add_f16_e32 v2, v49, v50
	v_fmac_f16_e32 v54, 0xb8b4, v45
	v_fmac_f16_e32 v77, 0x38b4, v46
	v_add_f16_e32 v0, v0, v1
	v_fmac_f16_e32 v69, 0xb8b4, v46
	v_fmac_f16_e32 v47, 0x34f2, v2
	;; [unrolled: 1-line block ×3, first 2 shown]
	v_pack_b32_f16 v2, v51, v71
	v_fmac_f16_e32 v77, 0x34f2, v0
	v_fmac_f16_e32 v69, 0x34f2, v0
	v_pack_b32_f16 v0, v30, v52
	v_add_f16_e32 v1, v7, v3
	v_pack_b32_f16 v3, v48, v73
	v_pack_b32_f16 v7, v28, v53
	;; [unrolled: 1-line block ×5, first 2 shown]
	ds_write2_b32 v78, v0, v2 offset1:11
	ds_write2_b32 v78, v3, v7 offset0:22 offset1:33
	ds_write_b32 v78, v28 offset:176
	ds_write2_b32 v75, v8, v11 offset1:11
	v_pack_b32_f16 v0, v9, v70
	v_pack_b32_f16 v2, v29, v55
	;; [unrolled: 1-line block ×8, first 2 shown]
	ds_write2_b32 v75, v0, v2 offset0:22 offset1:33
	ds_write_b32 v75, v3 offset:176
	ds_write2_b32 v74, v1, v4 offset1:11
	ds_write2_b32 v74, v5, v7 offset0:22 offset1:33
	ds_write_b32 v74, v6 offset:176
	s_waitcnt lgkmcnt(0)
	s_barrier
	buffer_gl0_inv
	ds_read2_b32 v[0:1], v56 offset1:55
	ds_read2_b32 v[2:3], v56 offset0:110 offset1:165
	ds_read2_b32 v[4:5], v26 offset0:74 offset1:129
	;; [unrolled: 1-line block ×6, first 2 shown]
	ds_read_b32 v30, v56 offset:3080
	s_waitcnt lgkmcnt(0)
	s_barrier
	buffer_gl0_inv
	v_lshrrev_b32_e32 v41, 16, v0
	v_lshrrev_b32_e32 v42, 16, v3
	;; [unrolled: 1-line block ×6, first 2 shown]
	v_mul_f16_sdwa v69, v16, v42 dst_sel:DWORD dst_unused:UNUSED_PAD src0_sel:WORD_1 src1_sel:DWORD
	v_mul_f16_sdwa v70, v16, v3 dst_sel:DWORD dst_unused:UNUSED_PAD src0_sel:WORD_1 src1_sel:DWORD
	;; [unrolled: 1-line block ×5, first 2 shown]
	v_lshrrev_b32_e32 v48, 16, v5
	v_lshrrev_b32_e32 v49, 16, v28
	v_fmac_f16_e32 v69, v16, v3
	v_fma_f16 v3, v16, v42, -v70
	v_fmac_f16_e32 v71, v17, v4
	v_fma_f16 v4, v17, v43, -v72
	v_fmac_f16_e32 v73, v18, v7
	v_mul_f16_sdwa v7, v18, v7 dst_sel:DWORD dst_unused:UNUSED_PAD src0_sel:WORD_1 src1_sel:DWORD
	v_mul_f16_sdwa v42, v19, v45 dst_sel:DWORD dst_unused:UNUSED_PAD src0_sel:WORD_1 src1_sel:DWORD
	;; [unrolled: 1-line block ×5, first 2 shown]
	v_lshrrev_b32_e32 v50, 16, v9
	v_lshrrev_b32_e32 v52, 16, v11
	v_fma_f16 v7, v18, v44, -v7
	v_fmac_f16_e32 v42, v19, v8
	v_fma_f16 v8, v19, v45, -v43
	v_fmac_f16_e32 v70, v16, v10
	v_fma_f16 v10, v16, v47, -v72
	v_mul_f16_sdwa v16, v17, v48 dst_sel:DWORD dst_unused:UNUSED_PAD src0_sel:WORD_1 src1_sel:DWORD
	v_mul_f16_sdwa v43, v17, v5 dst_sel:DWORD dst_unused:UNUSED_PAD src0_sel:WORD_1 src1_sel:DWORD
	;; [unrolled: 1-line block ×4, first 2 shown]
	v_lshrrev_b32_e32 v53, 16, v6
	v_mul_f16_sdwa v47, v19, v50 dst_sel:DWORD dst_unused:UNUSED_PAD src0_sel:WORD_1 src1_sel:DWORD
	v_fmac_f16_e32 v16, v17, v5
	v_fma_f16 v5, v17, v48, -v43
	v_fmac_f16_e32 v44, v18, v28
	v_fma_f16 v17, v18, v49, -v45
	v_mul_f16_sdwa v18, v12, v52 dst_sel:DWORD dst_unused:UNUSED_PAD src0_sel:WORD_1 src1_sel:DWORD
	v_mul_f16_sdwa v28, v12, v11 dst_sel:DWORD dst_unused:UNUSED_PAD src0_sel:WORD_1 src1_sel:DWORD
	v_lshrrev_b32_e32 v54, 16, v29
	v_fmac_f16_e32 v47, v19, v9
	v_mul_f16_sdwa v9, v19, v9 dst_sel:DWORD dst_unused:UNUSED_PAD src0_sel:WORD_1 src1_sel:DWORD
	v_mul_f16_sdwa v43, v13, v53 dst_sel:DWORD dst_unused:UNUSED_PAD src0_sel:WORD_1 src1_sel:DWORD
	;; [unrolled: 1-line block ×3, first 2 shown]
	v_fmac_f16_e32 v18, v12, v11
	v_fma_f16 v11, v12, v52, -v28
	v_add_f16_e32 v12, v71, v73
	v_lshrrev_b32_e32 v55, 16, v30
	v_fma_f16 v9, v19, v50, -v9
	v_fmac_f16_e32 v43, v13, v6
	v_fma_f16 v6, v13, v53, -v45
	v_mul_f16_sdwa v13, v14, v54 dst_sel:DWORD dst_unused:UNUSED_PAD src0_sel:WORD_1 src1_sel:DWORD
	v_mul_f16_sdwa v19, v14, v29 dst_sel:DWORD dst_unused:UNUSED_PAD src0_sel:WORD_1 src1_sel:DWORD
	v_add_f16_e32 v45, v0, v69
	v_fma_f16 v12, -0.5, v12, v0
	v_sub_f16_e32 v48, v3, v8
	v_mul_f16_sdwa v28, v15, v55 dst_sel:DWORD dst_unused:UNUSED_PAD src0_sel:WORD_1 src1_sel:DWORD
	v_fmac_f16_e32 v13, v14, v29
	v_fma_f16 v14, v14, v54, -v19
	v_add_f16_e32 v19, v45, v71
	v_fmamk_f16 v29, v48, 0xbb9c, v12
	v_sub_f16_e32 v45, v4, v7
	v_sub_f16_e32 v49, v69, v71
	;; [unrolled: 1-line block ×3, first 2 shown]
	v_add_f16_e32 v52, v69, v42
	v_fmac_f16_e32 v12, 0x3b9c, v48
	v_fmac_f16_e32 v28, v15, v30
	v_mul_f16_sdwa v30, v15, v30 dst_sel:DWORD dst_unused:UNUSED_PAD src0_sel:WORD_1 src1_sel:DWORD
	v_add_f16_e32 v19, v19, v73
	v_fmac_f16_e32 v29, 0xb8b4, v45
	v_add_f16_e32 v49, v49, v50
	v_fma_f16 v0, -0.5, v52, v0
	v_sub_f16_e32 v50, v71, v69
	v_sub_f16_e32 v52, v73, v42
	v_fmac_f16_e32 v12, 0x38b4, v45
	v_add_f16_e32 v53, v41, v3
	v_add_f16_e32 v54, v4, v7
	v_fma_f16 v15, v15, v55, -v30
	v_add_f16_e32 v19, v19, v42
	v_fmac_f16_e32 v29, 0x34f2, v49
	v_fmamk_f16 v30, v45, 0x3b9c, v0
	v_add_f16_e32 v50, v50, v52
	v_fmac_f16_e32 v0, 0xbb9c, v45
	v_add_f16_e32 v45, v53, v4
	v_fma_f16 v52, -0.5, v54, v41
	v_sub_f16_e32 v42, v69, v42
	v_fmac_f16_e32 v12, 0x34f2, v49
	v_add_f16_e32 v49, v3, v8
	v_sub_f16_e32 v54, v3, v4
	v_sub_f16_e32 v3, v4, v3
	;; [unrolled: 1-line block ×3, first 2 shown]
	v_fmac_f16_e32 v30, 0xb8b4, v48
	v_fmac_f16_e32 v0, 0x38b4, v48
	v_add_f16_e32 v45, v45, v7
	v_fmamk_f16 v48, v42, 0x3b9c, v52
	v_sub_f16_e32 v53, v71, v73
	v_sub_f16_e32 v55, v8, v7
	v_fmac_f16_e32 v41, -0.5, v49
	v_fmac_f16_e32 v52, 0xbb9c, v42
	v_add_f16_e32 v7, v16, v44
	v_add_f16_e32 v3, v3, v4
	;; [unrolled: 1-line block ×3, first 2 shown]
	v_lshrrev_b32_e32 v46, 16, v1
	v_fmac_f16_e32 v30, 0x34f2, v50
	v_fmac_f16_e32 v0, 0x34f2, v50
	v_add_f16_e32 v45, v45, v8
	v_fmac_f16_e32 v48, 0x38b4, v53
	v_add_f16_e32 v49, v54, v55
	v_fmamk_f16 v50, v53, 0xbb9c, v41
	v_fmac_f16_e32 v52, 0xb8b4, v53
	v_fma_f16 v7, -0.5, v7, v1
	v_sub_f16_e32 v8, v10, v9
	v_fmac_f16_e32 v41, 0x3b9c, v53
	v_add_f16_e32 v4, v4, v16
	v_add_f16_e32 v69, v70, v47
	v_fmac_f16_e32 v48, 0x34f2, v49
	v_fmac_f16_e32 v50, 0x38b4, v42
	;; [unrolled: 1-line block ×3, first 2 shown]
	v_fmamk_f16 v49, v8, 0xbb9c, v7
	v_sub_f16_e32 v53, v5, v17
	v_sub_f16_e32 v54, v70, v16
	;; [unrolled: 1-line block ×3, first 2 shown]
	v_fmac_f16_e32 v41, 0xb8b4, v42
	v_add_f16_e32 v4, v4, v44
	v_fmac_f16_e32 v1, -0.5, v69
	v_fmac_f16_e32 v7, 0x3b9c, v8
	v_add_f16_e32 v69, v46, v10
	v_fmac_f16_e32 v50, 0x34f2, v3
	v_fmac_f16_e32 v49, 0xb8b4, v53
	v_add_f16_e32 v42, v54, v55
	v_fmac_f16_e32 v41, 0x34f2, v3
	v_add_f16_e32 v3, v4, v47
	v_fmamk_f16 v4, v53, 0x3b9c, v1
	v_sub_f16_e32 v54, v16, v70
	v_sub_f16_e32 v55, v44, v47
	v_fmac_f16_e32 v7, 0x38b4, v53
	v_add_f16_e32 v71, v5, v17
	v_fmac_f16_e32 v1, 0xbb9c, v53
	v_add_f16_e32 v53, v69, v5
	;; [unrolled: 2-line block ×3, first 2 shown]
	v_fma_f16 v55, -0.5, v71, v46
	v_sub_f16_e32 v47, v70, v47
	v_fmac_f16_e32 v1, 0x38b4, v8
	v_add_f16_e32 v8, v53, v17
	v_add_f16_e32 v53, v10, v9
	v_fmac_f16_e32 v49, 0x34f2, v42
	v_fmac_f16_e32 v7, 0x34f2, v42
	v_fmamk_f16 v42, v47, 0x3b9c, v55
	v_sub_f16_e32 v16, v16, v44
	v_sub_f16_e32 v44, v10, v5
	;; [unrolled: 1-line block ×3, first 2 shown]
	v_fmac_f16_e32 v46, -0.5, v53
	v_add_f16_e32 v8, v8, v9
	v_fmac_f16_e32 v55, 0xbb9c, v47
	v_sub_f16_e32 v5, v5, v10
	v_sub_f16_e32 v9, v17, v9
	v_add_f16_e32 v10, v43, v13
	v_fmac_f16_e32 v42, 0x38b4, v16
	v_add_f16_e32 v44, v44, v69
	v_fmamk_f16 v53, v16, 0xbb9c, v46
	v_fmac_f16_e32 v55, 0xb8b4, v16
	v_add_f16_e32 v5, v5, v9
	v_fmac_f16_e32 v46, 0x3b9c, v16
	v_add_f16_e32 v9, v2, v18
	v_fma_f16 v10, -0.5, v10, v2
	v_sub_f16_e32 v16, v11, v15
	v_fmac_f16_e32 v4, 0x34f2, v54
	v_fmac_f16_e32 v1, 0x34f2, v54
	v_fmac_f16_e32 v42, 0x34f2, v44
	v_fmac_f16_e32 v53, 0x38b4, v47
	v_fmac_f16_e32 v55, 0x34f2, v44
	v_fmac_f16_e32 v46, 0xb8b4, v47
	v_add_f16_e32 v9, v9, v43
	v_fmamk_f16 v17, v16, 0xbb9c, v10
	v_sub_f16_e32 v44, v6, v14
	v_sub_f16_e32 v47, v18, v43
	;; [unrolled: 1-line block ×3, first 2 shown]
	v_fmac_f16_e32 v10, 0x3b9c, v16
	v_add_f16_e32 v69, v18, v28
	v_lshrrev_b32_e32 v51, 16, v2
	v_add_f16_e32 v9, v9, v13
	v_fmac_f16_e32 v17, 0xb8b4, v44
	v_add_f16_e32 v47, v47, v54
	v_fmac_f16_e32 v10, 0x38b4, v44
	v_fmac_f16_e32 v2, -0.5, v69
	v_sub_f16_e32 v54, v43, v18
	v_sub_f16_e32 v69, v13, v28
	v_fmac_f16_e32 v53, 0x34f2, v5
	v_fmac_f16_e32 v46, 0x34f2, v5
	v_add_f16_e32 v5, v9, v28
	v_fmac_f16_e32 v17, 0x34f2, v47
	v_fmac_f16_e32 v10, 0x34f2, v47
	v_fmamk_f16 v9, v44, 0x3b9c, v2
	v_add_f16_e32 v47, v6, v14
	v_fmac_f16_e32 v2, 0xbb9c, v44
	v_sub_f16_e32 v18, v18, v28
	v_add_f16_e32 v28, v54, v69
	v_add_f16_e32 v54, v11, v15
	;; [unrolled: 1-line block ×3, first 2 shown]
	v_fma_f16 v47, -0.5, v47, v51
	v_fmac_f16_e32 v9, 0xb8b4, v16
	v_fmac_f16_e32 v2, 0x38b4, v16
	v_sub_f16_e32 v13, v43, v13
	v_fmac_f16_e32 v51, -0.5, v54
	v_add_f16_e32 v16, v44, v6
	v_fmac_f16_e32 v9, 0x34f2, v28
	v_fmac_f16_e32 v2, 0x34f2, v28
	v_sub_f16_e32 v28, v11, v6
	v_fmamk_f16 v54, v13, 0xbb9c, v51
	v_sub_f16_e32 v6, v6, v11
	v_sub_f16_e32 v11, v14, v15
	v_fmac_f16_e32 v51, 0x3b9c, v13
	v_fmamk_f16 v44, v18, 0x3b9c, v47
	v_sub_f16_e32 v43, v15, v14
	v_fmac_f16_e32 v47, 0xbb9c, v18
	v_fmac_f16_e32 v54, 0x38b4, v18
	v_add_f16_e32 v6, v6, v11
	v_fmac_f16_e32 v51, 0xb8b4, v18
	v_add_f16_e32 v16, v16, v14
	;; [unrolled: 2-line block ×3, first 2 shown]
	v_fmac_f16_e32 v47, 0xb8b4, v13
	v_fmac_f16_e32 v54, 0x34f2, v6
	;; [unrolled: 1-line block ×3, first 2 shown]
	v_pack_b32_f16 v6, v19, v45
	v_pack_b32_f16 v13, v29, v48
	v_fmac_f16_e32 v44, 0x34f2, v14
	v_fmac_f16_e32 v47, 0x34f2, v14
	v_pack_b32_f16 v14, v30, v50
	v_pack_b32_f16 v0, v0, v41
	v_add_f16_e32 v11, v16, v15
	v_pack_b32_f16 v12, v12, v52
	v_pack_b32_f16 v3, v3, v8
	ds_write2_b32 v56, v6, v13 offset1:55
	ds_write2_b32 v56, v14, v0 offset0:110 offset1:165
	ds_write2_b32 v27, v12, v3 offset0:92 offset1:147
	v_pack_b32_f16 v0, v49, v42
	v_pack_b32_f16 v3, v4, v53
	;; [unrolled: 1-line block ×6, first 2 shown]
	v_add_nc_u32_e32 v7, 0x800, v81
	v_pack_b32_f16 v8, v9, v54
	v_pack_b32_f16 v2, v2, v51
	;; [unrolled: 1-line block ×3, first 2 shown]
	ds_write2_b32 v26, v0, v3 offset0:74 offset1:129
	ds_write2_b32 v26, v1, v4 offset0:184 offset1:239
	;; [unrolled: 1-line block ×4, first 2 shown]
	ds_write_b32 v81, v9 offset:3080
	s_waitcnt lgkmcnt(0)
	s_barrier
	buffer_gl0_inv
	ds_read2_b32 v[0:1], v56 offset1:55
	ds_read2_b32 v[2:3], v27 offset0:92 offset1:147
	ds_read2_b32 v[4:5], v25 offset0:38 offset1:93
	;; [unrolled: 1-line block ×6, first 2 shown]
	ds_read_b32 v14, v56 offset:3080
	s_waitcnt lgkmcnt(7)
	v_lshrrev_b32_e32 v15, 16, v0
	s_waitcnt lgkmcnt(6)
	v_lshrrev_b32_e32 v16, 16, v3
	;; [unrolled: 2-line block ×4, first 2 shown]
	v_mul_f16_sdwa v48, v39, v3 dst_sel:DWORD dst_unused:UNUSED_PAD src0_sel:WORD_1 src1_sel:DWORD
	v_lshrrev_b32_e32 v28, 16, v5
	v_mul_f16_sdwa v46, v39, v16 dst_sel:DWORD dst_unused:UNUSED_PAD src0_sel:WORD_1 src1_sel:DWORD
	v_mul_f16_sdwa v50, v40, v17 dst_sel:DWORD dst_unused:UNUSED_PAD src0_sel:WORD_1 src1_sel:DWORD
	v_lshrrev_b32_e32 v30, 16, v7
	v_fma_f16 v16, v39, v16, -v48
	s_waitcnt lgkmcnt(2)
	v_lshrrev_b32_e32 v41, 16, v10
	v_fmac_f16_e32 v46, v39, v3
	v_mul_f16_sdwa v3, v40, v4 dst_sel:DWORD dst_unused:UNUSED_PAD src0_sel:WORD_1 src1_sel:DWORD
	v_mul_f16_sdwa v39, v37, v19 dst_sel:DWORD dst_unused:UNUSED_PAD src0_sel:WORD_1 src1_sel:DWORD
	v_fmac_f16_e32 v50, v40, v4
	v_mul_f16_sdwa v4, v37, v6 dst_sel:DWORD dst_unused:UNUSED_PAD src0_sel:WORD_1 src1_sel:DWORD
	s_waitcnt lgkmcnt(1)
	v_lshrrev_b32_e32 v43, 16, v12
	v_fma_f16 v3, v40, v17, -v3
	v_mul_f16_sdwa v17, v38, v28 dst_sel:DWORD dst_unused:UNUSED_PAD src0_sel:WORD_1 src1_sel:DWORD
	v_fmac_f16_e32 v39, v37, v6
	v_mul_f16_sdwa v6, v38, v5 dst_sel:DWORD dst_unused:UNUSED_PAD src0_sel:WORD_1 src1_sel:DWORD
	v_lshrrev_b32_e32 v44, 16, v11
	v_fma_f16 v4, v37, v19, -v4
	v_mul_f16_sdwa v19, v35, v30 dst_sel:DWORD dst_unused:UNUSED_PAD src0_sel:WORD_1 src1_sel:DWORD
	v_fmac_f16_e32 v17, v38, v5
	v_mul_f16_sdwa v5, v35, v7 dst_sel:DWORD dst_unused:UNUSED_PAD src0_sel:WORD_1 src1_sel:DWORD
	v_fma_f16 v6, v38, v28, -v6
	v_mul_f16_sdwa v28, v36, v41 dst_sel:DWORD dst_unused:UNUSED_PAD src0_sel:WORD_1 src1_sel:DWORD
	v_lshrrev_b32_e32 v47, 16, v13
	v_fmac_f16_e32 v19, v35, v7
	v_mul_f16_sdwa v7, v36, v10 dst_sel:DWORD dst_unused:UNUSED_PAD src0_sel:WORD_1 src1_sel:DWORD
	v_fma_f16 v5, v35, v30, -v5
	v_mul_f16_sdwa v30, v33, v43 dst_sel:DWORD dst_unused:UNUSED_PAD src0_sel:WORD_1 src1_sel:DWORD
	v_fmac_f16_e32 v28, v36, v10
	v_mul_f16_sdwa v10, v33, v12 dst_sel:DWORD dst_unused:UNUSED_PAD src0_sel:WORD_1 src1_sel:DWORD
	v_mul_f16_sdwa v35, v34, v44 dst_sel:DWORD dst_unused:UNUSED_PAD src0_sel:WORD_1 src1_sel:DWORD
	s_waitcnt lgkmcnt(0)
	v_lshrrev_b32_e32 v49, 16, v14
	v_fmac_f16_e32 v30, v33, v12
	v_mul_f16_sdwa v12, v34, v11 dst_sel:DWORD dst_unused:UNUSED_PAD src0_sel:WORD_1 src1_sel:DWORD
	v_fma_f16 v10, v33, v43, -v10
	v_mul_f16_sdwa v33, v31, v47 dst_sel:DWORD dst_unused:UNUSED_PAD src0_sel:WORD_1 src1_sel:DWORD
	v_fmac_f16_e32 v35, v34, v11
	v_mul_f16_sdwa v11, v31, v13 dst_sel:DWORD dst_unused:UNUSED_PAD src0_sel:WORD_1 src1_sel:DWORD
	v_fma_f16 v12, v34, v44, -v12
	v_mul_f16_sdwa v34, v32, v49 dst_sel:DWORD dst_unused:UNUSED_PAD src0_sel:WORD_1 src1_sel:DWORD
	v_fmac_f16_e32 v33, v31, v13
	v_mul_f16_sdwa v13, v32, v14 dst_sel:DWORD dst_unused:UNUSED_PAD src0_sel:WORD_1 src1_sel:DWORD
	v_fma_f16 v11, v31, v47, -v11
	v_add_f16_e32 v31, v46, v50
	v_fmac_f16_e32 v34, v32, v14
	v_add_f16_e32 v14, v0, v46
	v_fma_f16 v13, v32, v49, -v13
	v_add_f16_e32 v32, v16, v3
	v_fma_f16 v0, -0.5, v31, v0
	v_sub_f16_e32 v31, v16, v3
	v_add_f16_e32 v16, v15, v16
	v_lshrrev_b32_e32 v18, 16, v1
	v_fmac_f16_e32 v15, -0.5, v32
	v_sub_f16_e32 v32, v46, v50
	v_fma_f16 v7, v36, v41, -v7
	v_add_f16_e32 v3, v16, v3
	v_add_f16_e32 v16, v39, v17
	v_fmamk_f16 v36, v31, 0xbaee, v0
	v_fmac_f16_e32 v0, 0x3aee, v31
	v_fmamk_f16 v31, v32, 0x3aee, v15
	v_add_f16_e32 v37, v1, v39
	v_fmac_f16_e32 v15, 0xbaee, v32
	v_add_f16_e32 v32, v4, v6
	v_fmac_f16_e32 v1, -0.5, v16
	v_sub_f16_e32 v16, v4, v6
	v_add_f16_e32 v4, v18, v4
	v_lshrrev_b32_e32 v29, 16, v8
	v_add_f16_e32 v37, v37, v17
	v_fmac_f16_e32 v18, -0.5, v32
	v_sub_f16_e32 v17, v39, v17
	v_add_f16_e32 v4, v4, v6
	v_add_f16_e32 v6, v19, v28
	v_fmamk_f16 v32, v16, 0xbaee, v1
	v_fmac_f16_e32 v1, 0x3aee, v16
	v_fmamk_f16 v16, v17, 0x3aee, v18
	v_add_f16_e32 v38, v8, v19
	v_fmac_f16_e32 v18, 0xbaee, v17
	v_add_f16_e32 v17, v5, v7
	v_fma_f16 v6, -0.5, v6, v8
	v_sub_f16_e32 v8, v5, v7
	v_add_f16_e32 v5, v29, v5
	v_lshrrev_b32_e32 v42, 16, v9
	v_fmac_f16_e32 v29, -0.5, v17
	v_sub_f16_e32 v17, v19, v28
	v_add_f16_e32 v38, v38, v28
	v_add_f16_e32 v5, v5, v7
	;; [unrolled: 1-line block ×3, first 2 shown]
	v_fmamk_f16 v19, v8, 0xbaee, v6
	v_fmac_f16_e32 v6, 0x3aee, v8
	v_fmamk_f16 v8, v17, 0x3aee, v29
	v_add_f16_e32 v28, v9, v30
	v_fmac_f16_e32 v29, 0xbaee, v17
	v_add_f16_e32 v17, v10, v12
	v_fmac_f16_e32 v9, -0.5, v7
	v_sub_f16_e32 v7, v10, v12
	v_add_f16_e32 v10, v42, v10
	v_lshrrev_b32_e32 v45, 16, v2
	v_fmac_f16_e32 v42, -0.5, v17
	v_sub_f16_e32 v17, v30, v35
	v_fmamk_f16 v30, v7, 0xbaee, v9
	v_fmac_f16_e32 v9, 0x3aee, v7
	v_add_f16_e32 v7, v10, v12
	v_add_f16_e32 v10, v33, v34
	;; [unrolled: 1-line block ×3, first 2 shown]
	v_fmamk_f16 v12, v17, 0x3aee, v42
	v_add_f16_e32 v35, v2, v33
	v_fmac_f16_e32 v42, 0xbaee, v17
	v_add_f16_e32 v17, v11, v13
	v_fmac_f16_e32 v2, -0.5, v10
	v_sub_f16_e32 v10, v11, v13
	v_add_f16_e32 v11, v45, v11
	v_add_f16_e32 v14, v14, v50
	v_fmac_f16_e32 v45, -0.5, v17
	v_sub_f16_e32 v17, v33, v34
	v_fmamk_f16 v33, v10, 0xbaee, v2
	v_fmac_f16_e32 v2, 0x3aee, v10
	v_pack_b32_f16 v10, v36, v31
	v_pack_b32_f16 v0, v0, v15
	;; [unrolled: 1-line block ×5, first 2 shown]
	ds_write_b32 v56, v10 offset:1100
	v_pack_b32_f16 v10, v32, v16
	v_pack_b32_f16 v1, v1, v18
	;; [unrolled: 1-line block ×3, first 2 shown]
	v_add_f16_e32 v35, v35, v34
	v_add_f16_e32 v11, v11, v13
	v_fmamk_f16 v13, v17, 0x3aee, v45
	v_fmac_f16_e32 v45, 0xbaee, v17
	ds_write_b32 v56, v0 offset:2200
	ds_write2_b32 v56, v3, v4 offset1:55
	v_pack_b32_f16 v0, v38, v5
	ds_write2_b32 v26, v10, v8 offset0:74 offset1:129
	ds_write2_b32 v25, v1, v6 offset0:93 offset1:148
	v_pack_b32_f16 v1, v28, v7
	v_pack_b32_f16 v4, v9, v42
	;; [unrolled: 1-line block ×6, first 2 shown]
	ds_write2_b32 v56, v0, v1 offset0:110 offset1:165
	ds_write_b32 v56, v4 offset:2860
	ds_write_b32 v56, v5 offset:880
	ds_write2_b32 v26, v3, v6 offset0:184 offset1:239
	ds_write_b32 v56, v2 offset:3080
	s_waitcnt lgkmcnt(0)
	s_barrier
	buffer_gl0_inv
	ds_read2_b32 v[0:1], v56 offset1:75
	s_waitcnt lgkmcnt(0)
	v_lshrrev_b32_e32 v4, 16, v0
	v_lshrrev_b32_e32 v11, 16, v1
	v_mul_f16_sdwa v2, v68, v4 dst_sel:DWORD dst_unused:UNUSED_PAD src0_sel:WORD_1 src1_sel:DWORD
	v_fmac_f16_e32 v2, v68, v0
	v_mul_f16_sdwa v0, v68, v0 dst_sel:DWORD dst_unused:UNUSED_PAD src0_sel:WORD_1 src1_sel:DWORD
	v_cvt_f32_f16_e32 v2, v2
	v_fma_f16 v0, v68, v4, -v0
	v_cvt_f64_f32_e32 v[2:3], v2
	v_cvt_f32_f16_e32 v0, v0
	v_cvt_f64_f32_e32 v[4:5], v0
	v_mul_f64 v[2:3], v[2:3], s[4:5]
	v_mul_f64 v[4:5], v[4:5], s[4:5]
	v_and_or_b32 v0, 0x1ff, v3, v2
	v_lshrrev_b32_e32 v2, 8, v3
	v_bfe_u32 v6, v3, 20, 11
	v_cmp_ne_u32_e64 s0, 0, v0
	v_and_or_b32 v4, 0x1ff, v5, v4
	v_lshrrev_b32_e32 v9, 8, v5
	v_bfe_u32 v10, v5, 20, 11
	v_add_nc_u32_e32 v12, 0xfffffc10, v6
	v_cndmask_b32_e64 v0, 0, 1, s0
	v_cmp_ne_u32_e64 s0, 0, v4
	v_add_nc_u32_e32 v17, 0xfffffc10, v10
	v_and_or_b32 v2, 0xffe, v2, v0
	v_sub_nc_u32_e32 v0, 0x3f1, v6
	v_cndmask_b32_e64 v4, 0, 1, s0
	v_cmp_gt_i32_e64 s2, 1, v17
	v_or_b32_e32 v7, 0x1000, v2
	v_med3_i32 v0, v0, 0, 13
	v_and_or_b32 v4, 0xffe, v9, v4
	v_sub_nc_u32_e32 v9, 0x3f1, v10
	v_lshrrev_b32_e32 v8, v0, v7
	v_or_b32_e32 v13, 0x1000, v4
	v_med3_i32 v6, v9, 0, 13
	v_lshl_or_b32 v10, v17, 12, v4
	v_lshlrev_b32_e32 v0, v0, v8
	v_lshrrev_b32_e32 v14, v6, v13
	v_cmp_ne_u32_e64 s0, v0, v7
	v_mul_f16_sdwa v7, v67, v11 dst_sel:DWORD dst_unused:UNUSED_PAD src0_sel:WORD_1 src1_sel:DWORD
	v_cndmask_b32_e64 v0, 0, 1, s0
	v_cmp_gt_i32_e64 s0, 1, v12
	v_fmac_f16_e32 v7, v67, v1
	v_mul_f16_sdwa v1, v67, v1 dst_sel:DWORD dst_unused:UNUSED_PAD src0_sel:WORD_1 src1_sel:DWORD
	v_or_b32_e32 v0, v8, v0
	v_lshl_or_b32 v8, v12, 12, v2
	v_fma_f16 v1, v67, v11, -v1
	v_cndmask_b32_e64 v15, v8, v0, s0
	v_lshlrev_b32_e32 v0, v6, v14
	v_cvt_f32_f16_e32 v8, v7
	v_mad_u64_u32 v[6:7], null, s10, v24, 0
	v_and_b32_e32 v16, 7, v15
	v_cmp_ne_u32_e64 s0, v0, v13
	v_cvt_f64_f32_e32 v[8:9], v8
	v_cmp_eq_u32_e64 s1, 3, v16
	v_cndmask_b32_e64 v13, 0, 1, s0
	v_cmp_lt_i32_e64 s0, 5, v16
	v_mov_b32_e32 v0, v7
	v_lshrrev_b32_e32 v16, 16, v5
	v_or_b32_e32 v7, v14, v13
	v_lshrrev_b32_e32 v13, 2, v15
	s_or_b32 s0, s1, s0
	v_cndmask_b32_e64 v10, v10, v7, s2
	v_add_co_ci_u32_e64 v7, s0, 0, v13, s0
	v_cmp_ne_u32_e64 s0, 0, v2
	v_cvt_f32_f16_e32 v13, v1
	v_and_b32_e32 v14, 7, v10
	v_lshrrev_b32_e32 v10, 2, v10
	v_cmp_eq_u32_e64 s2, 0x40f, v12
	v_cndmask_b32_e64 v11, 0, 1, s0
	v_cmp_gt_i32_e64 s0, 31, v12
	v_mul_f64 v[1:2], v[8:9], s[4:5]
	v_cmp_eq_u32_e64 s1, 3, v14
	v_lshl_or_b32 v11, v11, 9, 0x7c00
	v_cndmask_b32_e64 v9, 0x7c00, v7, s0
	v_cvt_f64_f32_e32 v[7:8], v13
	v_cmp_lt_i32_e64 s0, 5, v14
	v_cndmask_b32_e64 v9, v9, v11, s2
	v_lshrrev_b32_e32 v11, 16, v3
	s_or_b32 s0, s1, s0
	v_add_co_ci_u32_e64 v10, s0, 0, v10, s0
	v_cmp_ne_u32_e64 s0, 0, v4
	v_and_or_b32 v13, 0x8000, v11, v9
	v_cndmask_b32_e64 v12, 0, 1, s0
	v_cmp_gt_i32_e64 s0, 31, v17
	v_and_or_b32 v14, 0x1ff, v2, v1
	v_mad_u64_u32 v[3:4], null, s11, v24, v[0:1]
	v_bfe_u32 v15, v2, 20, 11
	v_cndmask_b32_e64 v4, 0x7c00, v10, s0
	v_mul_f64 v[8:9], v[7:8], s[4:5]
	ds_read2_b32 v[10:11], v56 offset0:150 offset1:225
	v_cmp_ne_u32_e64 s0, 0, v14
	v_lshrrev_b32_e32 v14, 8, v2
	v_mad_u64_u32 v[0:1], null, s8, v65, 0
	v_lshl_or_b32 v12, v12, 9, 0x7c00
	v_cndmask_b32_e64 v7, 0, 1, s0
	v_cmp_eq_u32_e64 s0, 0x40f, v17
	v_and_or_b32 v14, 0xffe, v14, v7
	v_sub_nc_u32_e32 v7, 0x3f1, v15
	v_cndmask_b32_e64 v12, v4, v12, s0
	v_mad_u64_u32 v[4:5], null, s9, v65, v[1:2]
	v_or_b32_e32 v5, 0x1000, v14
	v_med3_i32 v17, v7, 0, 13
	v_mov_b32_e32 v7, v3
	v_and_or_b32 v3, 0x8000, v16, v12
	v_and_b32_e32 v12, 0xffff, v13
	s_waitcnt lgkmcnt(0)
	v_lshrrev_b32_e32 v16, 16, v10
	v_lshrrev_b32_e32 v13, v17, v5
	v_and_or_b32 v8, 0x1ff, v9, v8
	v_mov_b32_e32 v1, v4
	v_lshl_or_b32 v12, v3, 16, v12
	v_mul_f16_sdwa v4, v66, v16 dst_sel:DWORD dst_unused:UNUSED_PAD src0_sel:WORD_1 src1_sel:DWORD
	v_lshlrev_b32_e32 v3, v17, v13
	v_cmp_ne_u32_e64 s0, 0, v8
	v_bfe_u32 v18, v9, 20, 11
	v_lshrrev_b32_e32 v17, 8, v9
	v_fmac_f16_e32 v4, v66, v10
	v_add_nc_u32_e32 v15, 0xfffffc10, v15
	v_cndmask_b32_e64 v8, 0, 1, s0
	v_cmp_ne_u32_e64 s0, v3, v5
	v_sub_nc_u32_e32 v5, 0x3f1, v18
	v_cvt_f32_f16_e32 v4, v4
	v_lshlrev_b64 v[0:1], 2, v[0:1]
	v_and_or_b32 v8, 0xffe, v17, v8
	v_cndmask_b32_e64 v3, 0, 1, s0
	v_lshl_or_b32 v17, v15, 12, v14
	v_cmp_gt_i32_e64 s0, 1, v15
	v_med3_i32 v24, v5, 0, 13
	v_lshlrev_b64 v[5:6], 2, v[6:7]
	v_or_b32_e32 v13, v13, v3
	v_cvt_f64_f32_e32 v[3:4], v4
	v_or_b32_e32 v19, 0x1000, v8
	v_mul_f16_sdwa v10, v66, v10 dst_sel:DWORD dst_unused:UNUSED_PAD src0_sel:WORD_1 src1_sel:DWORD
	v_lshrrev_b32_e32 v9, 16, v9
	v_cndmask_b32_e64 v7, v17, v13, s0
	v_add_co_u32 v5, s0, s6, v5
	v_lshrrev_b32_e32 v13, v24, v19
	v_add_co_ci_u32_e64 v6, s0, s7, v6, s0
	v_and_b32_e32 v17, 7, v7
	v_add_co_u32 v0, s0, v5, v0
	v_lshlrev_b32_e32 v24, v24, v13
	v_add_co_ci_u32_e64 v1, s0, v6, v1, s0
	v_cmp_lt_i32_e64 s0, 5, v17
	v_cmp_eq_u32_e64 s1, 3, v17
	v_lshrrev_b32_e32 v5, 2, v7
	v_cmp_ne_u32_e64 s2, v24, v19
	v_add_nc_u32_e32 v7, 0xfffffc10, v18
	v_fma_f16 v10, v66, v16, -v10
	v_mul_f64 v[3:4], v[3:4], s[4:5]
	s_or_b32 s0, s1, s0
	v_cndmask_b32_e64 v6, 0, 1, s2
	v_add_co_ci_u32_e64 v5, s0, 0, v5, s0
	v_cmp_ne_u32_e64 s0, 0, v14
	global_store_dword v[0:1], v12, off
	v_or_b32_e32 v6, v13, v6
	v_lshl_or_b32 v13, v7, 12, v8
	v_cndmask_b32_e64 v14, 0, 1, s0
	v_cmp_gt_i32_e64 s0, 1, v7
	v_lshl_or_b32 v14, v14, 9, 0x7c00
	v_cndmask_b32_e64 v13, v13, v6, s0
	v_cvt_f32_f16_e32 v6, v10
	v_cmp_gt_i32_e64 s0, 31, v15
	v_and_b32_e32 v12, 7, v13
	v_and_or_b32 v3, 0x1ff, v4, v3
	v_cndmask_b32_e64 v10, 0x7c00, v5, s0
	v_cvt_f64_f32_e32 v[5:6], v6
	v_cmp_eq_u32_e64 s0, 0x40f, v15
	v_cmp_eq_u32_e64 s1, 3, v12
	v_cmp_ne_u32_e64 s2, 0, v3
	v_lshrrev_b32_e32 v15, 16, v11
	v_cndmask_b32_e64 v10, v10, v14, s0
	v_cmp_lt_i32_e64 s0, 5, v12
	v_lshrrev_b32_e32 v14, 16, v2
	v_lshrrev_b32_e32 v2, 2, v13
	v_cndmask_b32_e64 v3, 0, 1, s2
	v_lshrrev_b32_e32 v12, 8, v4
	v_bfe_u32 v13, v4, 20, 11
	s_or_b32 s0, s1, s0
	v_mul_f16_sdwa v17, v64, v15 dst_sel:DWORD dst_unused:UNUSED_PAD src0_sel:WORD_1 src1_sel:DWORD
	v_add_co_ci_u32_e64 v16, s0, 0, v2, s0
	v_and_or_b32 v12, 0xffe, v12, v3
	v_sub_nc_u32_e32 v2, 0x3f1, v13
	v_cmp_ne_u32_e64 s0, 0, v8
	v_fmac_f16_e32 v17, v64, v11
	v_and_or_b32 v10, 0x8000, v14, v10
	v_or_b32_e32 v18, 0x1000, v12
	v_med3_i32 v19, v2, 0, 13
	v_cndmask_b32_e64 v8, 0, 1, s0
	v_mul_f64 v[2:3], v[5:6], s[4:5]
	v_cmp_gt_i32_e64 s0, 31, v7
	v_cvt_f32_f16_e32 v14, v17
	v_add_nc_u32_e32 v13, 0xfffffc10, v13
	v_lshl_or_b32 v6, v8, 9, 0x7c00
	v_lshrrev_b32_e32 v8, v19, v18
	v_cndmask_b32_e64 v5, 0x7c00, v16, s0
	v_cmp_eq_u32_e64 s0, 0x40f, v7
	s_mul_i32 s1, s9, 0x4b
	s_mul_hi_u32 s2, s8, 0x4b
	v_lshlrev_b32_e32 v16, v19, v8
	s_add_i32 s3, s2, s1
	v_cndmask_b32_e64 v7, v5, v6, s0
	v_cvt_f64_f32_e32 v[5:6], v14
	v_mul_f16_sdwa v11, v64, v11 dst_sel:DWORD dst_unused:UNUSED_PAD src0_sel:WORD_1 src1_sel:DWORD
	v_cmp_ne_u32_e64 s0, v16, v18
	s_mul_i32 s2, s8, 0x4b
	v_and_or_b32 v7, 0x8000, v9, v7
	v_and_b32_e32 v9, 0xffff, v10
	v_lshl_or_b32 v10, v13, 12, v12
	v_cndmask_b32_e64 v14, 0, 1, s0
	v_cmp_gt_i32_e64 s0, 1, v13
	v_and_or_b32 v2, 0x1ff, v3, v2
	s_lshl_b64 s[6:7], s[2:3], 2
	v_fma_f16 v11, v64, v15, -v11
	v_or_b32_e32 v8, v8, v14
	v_lshl_or_b32 v14, v7, 16, v9
	v_bfe_u32 v9, v3, 20, 11
	v_lshrrev_b32_e32 v4, 16, v4
	v_cvt_f32_f16_e32 v11, v11
	v_cndmask_b32_e64 v7, v10, v8, s0
	v_cmp_ne_u32_e64 s0, 0, v2
	v_lshrrev_b32_e32 v8, 8, v3
	v_lshrrev_b32_e32 v28, 16, v3
	v_mul_f64 v[5:6], v[5:6], s[4:5]
	v_cndmask_b32_e64 v2, 0, 1, s0
	v_and_b32_e32 v10, 7, v7
	v_lshrrev_b32_e32 v7, 2, v7
	v_and_or_b32 v2, 0xffe, v8, v2
	v_sub_nc_u32_e32 v8, 0x3f1, v9
	v_cmp_lt_i32_e64 s0, 5, v10
	v_cmp_eq_u32_e64 s1, 3, v10
	v_or_b32_e32 v10, 0x1000, v2
	v_med3_i32 v8, v8, 0, 13
	s_or_b32 s0, s1, s0
	v_add_co_ci_u32_e64 v7, s0, 0, v7, s0
	v_lshrrev_b32_e32 v16, v8, v10
	v_add_co_u32 v0, s0, v0, s6
	v_add_co_ci_u32_e64 v1, s0, s7, v1, s0
	v_lshlrev_b32_e32 v15, v8, v16
	v_cmp_gt_i32_e64 s0, 31, v13
	v_and_or_b32 v5, 0x1ff, v6, v5
	v_lshrrev_b32_e32 v18, 8, v6
	v_bfe_u32 v19, v6, 20, 11
	global_store_dword v[0:1], v14, off
	v_cndmask_b32_e64 v17, 0x7c00, v7, s0
	v_cmp_ne_u32_e64 s0, v15, v10
	v_cvt_f64_f32_e32 v[7:8], v11
	v_add_nc_u32_e32 v15, 0xfffffc10, v9
	ds_read2_b32 v[9:10], v26 offset0:44 offset1:119
	v_lshrrev_b32_e32 v6, 16, v6
	v_cndmask_b32_e64 v11, 0, 1, s0
	v_cmp_ne_u32_e64 s0, 0, v5
	v_or_b32_e32 v11, v16, v11
	v_cndmask_b32_e64 v5, 0, 1, s0
	v_cmp_ne_u32_e64 s0, 0, v12
	v_lshl_or_b32 v16, v15, 12, v2
	v_and_or_b32 v18, 0xffe, v18, v5
	v_cndmask_b32_e64 v12, 0, 1, s0
	v_sub_nc_u32_e32 v5, 0x3f1, v19
	v_cmp_gt_i32_e64 s0, 1, v15
	v_lshl_or_b32 v12, v12, 9, 0x7c00
	v_med3_i32 v5, v5, 0, 13
	v_cndmask_b32_e64 v11, v16, v11, s0
	v_or_b32_e32 v16, 0x1000, v18
	v_cmp_eq_u32_e64 s0, 0x40f, v13
	v_mul_f64 v[7:8], v[7:8], s[4:5]
	s_waitcnt lgkmcnt(0)
	v_lshrrev_b32_e32 v14, 16, v9
	v_lshrrev_b32_e32 v13, v5, v16
	v_cndmask_b32_e64 v12, v17, v12, s0
	v_and_b32_e32 v17, 7, v11
	v_lshrrev_b32_e32 v11, 2, v11
	v_and_or_b32 v12, 0x8000, v4, v12
	v_lshlrev_b32_e32 v4, v5, v13
	v_cmp_lt_i32_e64 s0, 5, v17
	v_cmp_eq_u32_e64 s1, 3, v17
	v_mul_f16_sdwa v5, v63, v14 dst_sel:DWORD dst_unused:UNUSED_PAD src0_sel:WORD_1 src1_sel:DWORD
	v_and_b32_e32 v12, 0xffff, v12
	v_cmp_ne_u32_e64 s2, v4, v16
	v_add_nc_u32_e32 v16, 0xfffffc10, v19
	s_or_b32 s0, s1, s0
	v_fmac_f16_e32 v5, v63, v9
	v_add_co_ci_u32_e64 v11, s0, 0, v11, s0
	v_cndmask_b32_e64 v4, 0, 1, s2
	v_cmp_ne_u32_e64 s0, 0, v2
	v_lshl_or_b32 v17, v16, 12, v18
	v_and_or_b32 v7, 0x1ff, v8, v7
	v_bfe_u32 v19, v8, 20, 11
	v_or_b32_e32 v13, v13, v4
	v_cndmask_b32_e64 v2, 0, 1, s0
	v_cmp_gt_i32_e64 s0, 1, v16
	v_cvt_f32_f16_e32 v4, v5
	v_mul_f16_sdwa v9, v63, v9 dst_sel:DWORD dst_unused:UNUSED_PAD src0_sel:WORD_1 src1_sel:DWORD
	v_lshl_or_b32 v2, v2, 9, 0x7c00
	v_cndmask_b32_e64 v13, v17, v13, s0
	v_cmp_ne_u32_e64 s0, 0, v7
	v_cvt_f64_f32_e32 v[4:5], v4
	v_lshrrev_b32_e32 v17, 8, v8
	v_lshrrev_b32_e32 v8, 16, v8
	v_and_b32_e32 v24, 7, v13
	v_cndmask_b32_e64 v7, 0, 1, s0
	v_cmp_gt_i32_e64 s0, 31, v15
	v_cmp_eq_u32_e64 s1, 3, v24
	v_and_or_b32 v7, 0xffe, v17, v7
	v_sub_nc_u32_e32 v17, 0x3f1, v19
	v_cndmask_b32_e64 v11, 0x7c00, v11, s0
	v_cmp_eq_u32_e64 s0, 0x40f, v15
	v_or_b32_e32 v15, 0x1000, v7
	v_med3_i32 v17, v17, 0, 13
	v_cndmask_b32_e64 v11, v11, v2, s0
	v_cmp_lt_i32_e64 s0, 5, v24
	v_lshrrev_b32_e32 v24, v17, v15
	v_mul_f64 v[2:3], v[4:5], s[4:5]
	v_lshrrev_b32_e32 v4, 2, v13
	v_fma_f16 v5, v63, v14, -v9
	v_lshlrev_b32_e32 v9, v17, v24
	s_or_b32 s0, s1, s0
	v_add_nc_u32_e32 v14, 0xfffffc10, v19
	v_add_co_ci_u32_e64 v13, s0, 0, v4, s0
	v_cmp_ne_u32_e64 s0, v9, v15
	v_cvt_f32_f16_e32 v4, v5
	v_lshl_or_b32 v17, v14, 12, v7
	v_and_or_b32 v11, 0x8000, v28, v11
	v_cndmask_b32_e64 v9, 0, 1, s0
	v_cmp_ne_u32_e64 s0, 0, v18
	v_cvt_f64_f32_e32 v[4:5], v4
	v_lshrrev_b32_e32 v18, 16, v10
	v_or_b32_e32 v9, v24, v9
	v_cndmask_b32_e64 v15, 0, 1, s0
	v_cmp_gt_i32_e64 s0, 31, v16
	v_and_or_b32 v2, 0x1ff, v3, v2
	v_lshl_or_b32 v15, v15, 9, 0x7c00
	v_cndmask_b32_e64 v13, 0x7c00, v13, s0
	v_cmp_gt_i32_e64 s0, 1, v14
	v_cndmask_b32_e64 v9, v17, v9, s0
	v_cmp_eq_u32_e64 s0, 0x40f, v16
	v_lshrrev_b32_e32 v16, 8, v3
	v_bfe_u32 v17, v3, 20, 11
	v_cndmask_b32_e64 v13, v13, v15, s0
	v_and_b32_e32 v15, 7, v9
	v_cmp_ne_u32_e64 s0, 0, v2
	v_lshrrev_b32_e32 v9, 2, v9
	v_mul_f64 v[4:5], v[4:5], s[4:5]
	v_cmp_eq_u32_e64 s1, 3, v15
	v_cndmask_b32_e64 v2, 0, 1, s0
	v_cmp_lt_i32_e64 s0, 5, v15
	v_and_or_b32 v15, 0xffe, v16, v2
	s_or_b32 s0, s1, s0
	v_sub_nc_u32_e32 v2, 0x3f1, v17
	v_add_co_ci_u32_e64 v9, s0, 0, v9, s0
	v_cmp_ne_u32_e64 s0, 0, v7
	v_or_b32_e32 v16, 0x1000, v15
	v_med3_i32 v2, v2, 0, 13
	v_cndmask_b32_e64 v7, 0, 1, s0
	v_cmp_gt_i32_e64 s0, 31, v14
	v_lshrrev_b32_e32 v19, v2, v16
	v_and_or_b32 v4, 0x1ff, v5, v4
	v_lshl_or_b32 v7, v7, 9, 0x7c00
	v_cndmask_b32_e64 v9, 0x7c00, v9, s0
	v_cmp_eq_u32_e64 s0, 0x40f, v14
	v_lshlrev_b32_e32 v2, v2, v19
	v_lshl_or_b32 v14, v11, 16, v12
	v_and_or_b32 v11, 0x8000, v6, v13
	v_bfe_u32 v12, v5, 20, 11
	v_cndmask_b32_e64 v7, v9, v7, s0
	v_mul_f16_sdwa v9, v62, v18 dst_sel:DWORD dst_unused:UNUSED_PAD src0_sel:WORD_1 src1_sel:DWORD
	v_cmp_ne_u32_e64 s0, v2, v16
	v_add_nc_u32_e32 v16, 0xfffffc10, v17
	v_and_or_b32 v8, 0x8000, v8, v7
	v_fmac_f16_e32 v9, v62, v10
	v_cndmask_b32_e64 v2, 0, 1, s0
	v_cmp_ne_u32_e64 s0, 0, v4
	v_lshl_or_b32 v13, v16, 12, v15
	v_mul_f16_sdwa v10, v62, v10 dst_sel:DWORD dst_unused:UNUSED_PAD src0_sel:WORD_1 src1_sel:DWORD
	v_cvt_f32_f16_e32 v6, v9
	v_lshrrev_b32_e32 v9, 8, v5
	v_cndmask_b32_e64 v4, 0, 1, s0
	v_or_b32_e32 v2, v19, v2
	v_cmp_gt_i32_e64 s0, 1, v16
	v_cvt_f64_f32_e32 v[6:7], v6
	v_fma_f16 v10, v62, v18, -v10
	v_and_or_b32 v17, 0xffe, v9, v4
	v_sub_nc_u32_e32 v4, 0x3f1, v12
	v_and_b32_e32 v9, 0xffff, v11
	v_cndmask_b32_e64 v2, v13, v2, s0
	v_add_co_u32 v0, s0, v0, s6
	v_or_b32_e32 v11, 0x1000, v17
	v_med3_i32 v4, v4, 0, 13
	v_add_co_ci_u32_e64 v1, s0, s7, v1, s0
	v_and_b32_e32 v13, 7, v2
	v_lshl_or_b32 v19, v8, 16, v9
	v_lshrrev_b32_e32 v24, v4, v11
	v_add_co_u32 v8, s0, v0, s6
	v_add_co_ci_u32_e64 v9, s0, s7, v1, s0
	v_lshlrev_b32_e32 v4, v4, v24
	v_cmp_lt_i32_e64 s0, 5, v13
	v_cmp_eq_u32_e64 s1, 3, v13
	v_mul_f64 v[6:7], v[6:7], s[4:5]
	v_lshrrev_b32_e32 v13, 2, v2
	v_cmp_ne_u32_e64 s2, v4, v11
	v_cvt_f32_f16_e32 v10, v10
	s_or_b32 s0, s1, s0
	v_add_nc_u32_e32 v18, 0xfffffc10, v12
	v_add_co_ci_u32_e64 v28, s0, 0, v13, s0
	v_cndmask_b32_e64 v4, 0, 1, s2
	v_cmp_ne_u32_e64 s0, 0, v15
	v_cvt_f64_f32_e32 v[10:11], v10
	v_add_nc_u32_e32 v2, 0x600, v56
	v_or_b32_e32 v4, v24, v4
	v_lshl_or_b32 v24, v18, 12, v17
	v_cndmask_b32_e64 v15, 0, 1, s0
	v_cmp_gt_i32_e64 s0, 1, v18
	ds_read2_b32 v[12:13], v2 offset0:66 offset1:141
	global_store_dword v[0:1], v14, off
	global_store_dword v[8:9], v19, off
	v_lshl_or_b32 v15, v15, 9, 0x7c00
	v_cndmask_b32_e64 v24, v24, v4, s0
	v_and_or_b32 v4, 0x1ff, v7, v6
	v_cmp_gt_i32_e64 s0, 31, v16
	v_lshrrev_b32_e32 v29, 8, v7
	v_bfe_u32 v30, v7, 20, 11
	v_lshrrev_b32_e32 v7, 16, v7
	v_cndmask_b32_e64 v6, 0x7c00, v28, s0
	v_cmp_ne_u32_e64 s0, 0, v4
	v_and_b32_e32 v28, 7, v24
	v_cndmask_b32_e64 v4, 0, 1, s0
	v_cmp_eq_u32_e64 s0, 0x40f, v16
	v_cmp_eq_u32_e64 s1, 3, v28
	v_and_or_b32 v16, 0xffe, v29, v4
	v_cndmask_b32_e64 v6, v6, v15, s0
	v_cmp_lt_i32_e64 s0, 5, v28
	v_lshrrev_b32_e32 v15, 16, v3
	v_mul_f64 v[3:4], v[10:11], s[4:5]
	v_lshrrev_b32_e32 v11, 2, v24
	v_sub_nc_u32_e32 v29, 0x3f1, v30
	s_or_b32 s0, s1, s0
	v_or_b32_e32 v24, 0x1000, v16
	s_waitcnt lgkmcnt(0)
	v_lshrrev_b32_e32 v10, 16, v12
	v_add_co_ci_u32_e64 v11, s0, 0, v11, s0
	v_med3_i32 v28, v29, 0, 13
	v_cmp_ne_u32_e64 s0, 0, v17
	v_mul_f16_sdwa v29, v61, v10 dst_sel:DWORD dst_unused:UNUSED_PAD src0_sel:WORD_1 src1_sel:DWORD
	v_and_or_b32 v15, 0x8000, v15, v6
	v_lshrrev_b32_e32 v31, v28, v24
	v_cndmask_b32_e64 v17, 0, 1, s0
	v_cmp_gt_i32_e64 s0, 31, v18
	v_fmac_f16_e32 v29, v61, v12
	v_and_b32_e32 v15, 0xffff, v15
	v_lshlrev_b32_e32 v28, v28, v31
	v_lshl_or_b32 v17, v17, 9, 0x7c00
	v_cndmask_b32_e64 v11, 0x7c00, v11, s0
	v_cmp_eq_u32_e64 s0, 0x40f, v18
	v_and_or_b32 v3, 0x1ff, v4, v3
	v_cvt_f32_f16_e32 v6, v29
	v_bfe_u32 v29, v4, 20, 11
	v_cndmask_b32_e64 v11, v11, v17, s0
	v_cmp_ne_u32_e64 s0, v28, v24
	v_lshrrev_b32_e32 v17, 16, v5
	v_cvt_f64_f32_e32 v[5:6], v6
	v_add_nc_u32_e32 v24, 0xfffffc10, v30
	v_lshrrev_b32_e32 v28, 8, v4
	v_cndmask_b32_e64 v18, 0, 1, s0
	v_cmp_ne_u32_e64 s0, 0, v3
	v_and_or_b32 v11, 0x8000, v17, v11
	v_or_b32_e32 v17, v31, v18
	v_cndmask_b32_e64 v3, 0, 1, s0
	v_lshl_or_b32 v18, v24, 12, v16
	v_cmp_gt_i32_e64 s0, 1, v24
	v_lshl_or_b32 v11, v11, 16, v15
	v_and_or_b32 v3, 0xffe, v28, v3
	v_sub_nc_u32_e32 v28, 0x3f1, v29
	v_cndmask_b32_e64 v17, v18, v17, s0
	v_or_b32_e32 v18, 0x1000, v3
	v_med3_i32 v28, v28, 0, 13
	v_and_b32_e32 v14, 7, v17
	v_mul_f64 v[0:1], v[5:6], s[4:5]
	v_add_co_u32 v5, s0, v8, s6
	v_lshrrev_b32_e32 v15, v28, v18
	v_add_co_ci_u32_e64 v6, s0, s7, v9, s0
	v_cmp_lt_i32_e64 s0, 5, v14
	v_cmp_eq_u32_e64 s1, 3, v14
	v_lshlrev_b32_e32 v8, v28, v15
	v_mul_f16_sdwa v9, v61, v12 dst_sel:DWORD dst_unused:UNUSED_PAD src0_sel:WORD_1 src1_sel:DWORD
	v_lshrrev_b32_e32 v12, 2, v17
	global_store_dword v[5:6], v11, off
	s_or_b32 s0, s1, s0
	v_cmp_ne_u32_e64 s2, v8, v18
	v_fma_f16 v9, v61, v10, -v9
	v_add_co_ci_u32_e64 v12, s0, 0, v12, s0
	v_add_nc_u32_e32 v10, 0xfffffc10, v29
	v_cndmask_b32_e64 v8, 0, 1, s2
	v_cmp_ne_u32_e64 s0, 0, v16
	v_cvt_f32_f16_e32 v9, v9
	v_and_or_b32 v0, 0x1ff, v1, v0
	v_or_b32_e32 v14, v15, v8
	v_lshl_or_b32 v15, v10, 12, v3
	v_cndmask_b32_e64 v16, 0, 1, s0
	v_cmp_gt_i32_e64 s0, 1, v10
	v_cvt_f64_f32_e32 v[8:9], v9
	v_lshrrev_b32_e32 v17, 8, v1
	v_bfe_u32 v18, v1, 20, 11
	v_cndmask_b32_e64 v14, v15, v14, s0
	v_cmp_gt_i32_e64 s0, 31, v24
	v_lshl_or_b32 v15, v16, 9, 0x7c00
	v_and_b32_e32 v16, 7, v14
	v_cndmask_b32_e64 v12, 0x7c00, v12, s0
	v_cmp_ne_u32_e64 s0, 0, v0
	v_lshrrev_b32_e32 v14, 2, v14
	v_cmp_eq_u32_e64 s1, 3, v16
	v_cndmask_b32_e64 v0, 0, 1, s0
	v_cmp_eq_u32_e64 s0, 0x40f, v24
	v_and_or_b32 v0, 0xffe, v17, v0
	v_cndmask_b32_e64 v12, v12, v15, s0
	v_cmp_lt_i32_e64 s0, 5, v16
	v_lshrrev_b32_e32 v16, 16, v13
	v_mul_f64 v[8:9], v[8:9], s[4:5]
	v_sub_nc_u32_e32 v15, 0x3f1, v18
	v_or_b32_e32 v17, 0x1000, v0
	s_or_b32 s0, s1, s0
	v_mul_f16_sdwa v19, v60, v16 dst_sel:DWORD dst_unused:UNUSED_PAD src0_sel:WORD_1 src1_sel:DWORD
	v_add_co_ci_u32_e64 v14, s0, 0, v14, s0
	v_cmp_ne_u32_e64 s0, 0, v3
	v_med3_i32 v15, v15, 0, 13
	v_fmac_f16_e32 v19, v60, v13
	v_and_or_b32 v7, 0x8000, v7, v12
	v_mul_f16_sdwa v13, v60, v13 dst_sel:DWORD dst_unused:UNUSED_PAD src0_sel:WORD_1 src1_sel:DWORD
	v_cndmask_b32_e64 v3, 0, 1, s0
	v_cmp_gt_i32_e64 s0, 31, v10
	v_lshrrev_b32_e32 v24, v15, v17
	v_cvt_f32_f16_e32 v19, v19
	v_and_b32_e32 v7, 0xffff, v7
	v_lshl_or_b32 v3, v3, 9, 0x7c00
	v_cndmask_b32_e64 v14, 0x7c00, v14, s0
	v_cmp_eq_u32_e64 s0, 0x40f, v10
	v_lshlrev_b32_e32 v15, v15, v24
	v_and_or_b32 v8, 0x1ff, v9, v8
	v_cndmask_b32_e64 v10, v14, v3, s0
	v_lshrrev_b32_e32 v14, 16, v4
	v_cvt_f64_f32_e32 v[3:4], v19
	v_cmp_ne_u32_e64 s0, v15, v17
	v_add_nc_u32_e32 v17, 0xfffffc10, v18
	v_bfe_u32 v18, v9, 20, 11
	v_and_or_b32 v10, 0x8000, v14, v10
	v_cndmask_b32_e64 v15, 0, 1, s0
	v_cmp_ne_u32_e64 s0, 0, v8
	v_lshl_or_b32 v14, v17, 12, v0
	v_lshl_or_b32 v7, v10, 16, v7
	v_or_b32_e32 v12, v24, v15
	v_cndmask_b32_e64 v8, 0, 1, s0
	v_lshrrev_b32_e32 v15, 8, v9
	v_cmp_gt_i32_e64 s0, 1, v17
	v_lshrrev_b32_e32 v9, 16, v9
	v_cndmask_b32_e64 v12, v14, v12, s0
	v_and_or_b32 v14, 0xffe, v15, v8
	v_sub_nc_u32_e32 v8, 0x3f1, v18
	v_mul_f64 v[3:4], v[3:4], s[4:5]
	v_add_co_u32 v5, s0, v5, s6
	v_or_b32_e32 v11, 0x1000, v14
	v_med3_i32 v8, v8, 0, 13
	v_and_b32_e32 v10, 7, v12
	v_add_co_ci_u32_e64 v6, s0, s7, v6, s0
	v_lshrrev_b32_e32 v15, v8, v11
	v_cmp_lt_i32_e64 s0, 5, v10
	v_cmp_eq_u32_e64 s1, 3, v10
	global_store_dword v[5:6], v7, off
	v_lshrrev_b32_e32 v7, 2, v12
	v_lshlrev_b32_e32 v10, v8, v15
	v_fma_f16 v12, v60, v16, -v13
	s_or_b32 s0, s1, s0
	v_add_co_ci_u32_e64 v13, s0, 0, v7, s0
	v_cmp_ne_u32_e64 s0, v10, v11
	ds_read2_b32 v[7:8], v25 offset0:88 offset1:163
	v_and_or_b32 v3, 0x1ff, v4, v3
	v_cvt_f32_f16_e32 v10, v12
	v_add_nc_u32_e32 v12, 0xfffffc10, v18
	v_cndmask_b32_e64 v16, 0, 1, s0
	v_cmp_gt_i32_e64 s0, 31, v17
	v_lshrrev_b32_e32 v18, 8, v4
	v_cvt_f64_f32_e32 v[10:11], v10
	v_bfe_u32 v19, v4, 20, 11
	v_or_b32_e32 v15, v15, v16
	v_cndmask_b32_e64 v13, 0x7c00, v13, s0
	v_cmp_ne_u32_e64 s0, 0, v3
	v_lshl_or_b32 v16, v12, 12, v14
	v_cndmask_b32_e64 v3, 0, 1, s0
	v_cmp_ne_u32_e64 s0, 0, v0
	v_and_or_b32 v3, 0xffe, v18, v3
	v_cndmask_b32_e64 v0, 0, 1, s0
	v_cmp_gt_i32_e64 s0, 1, v12
	s_waitcnt lgkmcnt(0)
	v_lshrrev_b32_e32 v18, 16, v7
	v_or_b32_e32 v28, 0x1000, v3
	v_lshl_or_b32 v0, v0, 9, 0x7c00
	v_cndmask_b32_e64 v15, v16, v15, s0
	v_sub_nc_u32_e32 v16, 0x3f1, v19
	v_cmp_eq_u32_e64 s0, 0x40f, v17
	v_mul_f16_sdwa v29, v59, v18 dst_sel:DWORD dst_unused:UNUSED_PAD src0_sel:WORD_1 src1_sel:DWORD
	v_mul_f64 v[10:11], v[10:11], s[4:5]
	v_and_b32_e32 v24, 7, v15
	v_med3_i32 v16, v16, 0, 13
	v_cndmask_b32_e64 v13, v13, v0, s0
	v_lshrrev_b32_e32 v0, 2, v15
	v_fmac_f16_e32 v29, v59, v7
	v_cmp_lt_i32_e64 s0, 5, v24
	v_cmp_eq_u32_e64 s1, 3, v24
	v_lshrrev_b32_e32 v17, v16, v28
	v_lshrrev_b32_e32 v24, 16, v1
	v_cvt_f32_f16_e32 v1, v29
	v_add_nc_u32_e32 v19, 0xfffffc10, v19
	s_or_b32 s0, s1, s0
	v_lshlrev_b32_e32 v15, v16, v17
	v_add_co_ci_u32_e64 v16, s0, 0, v0, s0
	v_cmp_ne_u32_e64 s0, 0, v14
	v_cvt_f64_f32_e32 v[0:1], v1
	v_and_or_b32 v13, 0x8000, v24, v13
	v_mul_f16_sdwa v7, v59, v7 dst_sel:DWORD dst_unused:UNUSED_PAD src0_sel:WORD_1 src1_sel:DWORD
	v_lshrrev_b32_e32 v29, 16, v8
	v_cndmask_b32_e64 v14, 0, 1, s0
	v_cmp_ne_u32_e64 s0, v15, v28
	v_and_or_b32 v10, 0x1ff, v11, v10
	v_and_b32_e32 v13, 0xffff, v13
	v_fma_f16 v7, v59, v18, -v7
	v_lshl_or_b32 v14, v14, 9, 0x7c00
	v_cndmask_b32_e64 v15, 0, 1, s0
	v_cmp_gt_i32_e64 s0, 31, v12
	v_cvt_f32_f16_e32 v7, v7
	v_or_b32_e32 v15, v17, v15
	v_cndmask_b32_e64 v16, 0x7c00, v16, s0
	v_cmp_eq_u32_e64 s0, 0x40f, v12
	v_lshl_or_b32 v17, v19, 12, v3
	v_cndmask_b32_e64 v12, v16, v14, s0
	v_cmp_gt_i32_e64 s0, 1, v19
	v_bfe_u32 v16, v11, 20, 11
	v_mul_f64 v[0:1], v[0:1], s[4:5]
	v_and_or_b32 v9, 0x8000, v9, v12
	v_cndmask_b32_e64 v14, v17, v15, s0
	v_cmp_ne_u32_e64 s0, 0, v10
	v_lshrrev_b32_e32 v15, 8, v11
	v_lshrrev_b32_e32 v11, 16, v11
	v_lshl_or_b32 v13, v9, 16, v13
	v_and_b32_e32 v17, 7, v14
	v_cndmask_b32_e64 v10, 0, 1, s0
	v_lshrrev_b32_e32 v14, 2, v14
	v_cmp_lt_i32_e64 s0, 5, v17
	v_and_or_b32 v15, 0xffe, v15, v10
	v_sub_nc_u32_e32 v10, 0x3f1, v16
	v_cmp_eq_u32_e64 s1, 3, v17
	v_or_b32_e32 v12, 0x1000, v15
	v_med3_i32 v10, v10, 0, 13
	s_or_b32 s0, s1, s0
	v_and_or_b32 v0, 0x1ff, v1, v0
	v_add_co_ci_u32_e64 v14, s0, 0, v14, s0
	v_lshrrev_b32_e32 v17, v10, v12
	v_cmp_gt_i32_e64 s0, 31, v19
	v_bfe_u32 v18, v1, 20, 11
	v_lshlrev_b32_e32 v9, v10, v17
	v_cndmask_b32_e64 v14, 0x7c00, v14, s0
	v_cmp_ne_u32_e64 s0, v9, v12
	v_cvt_f64_f32_e32 v[9:10], v7
	v_add_nc_u32_e32 v7, 0xfffffc10, v16
	v_lshrrev_b32_e32 v16, 8, v1
	v_lshrrev_b32_e32 v1, 16, v1
	v_cndmask_b32_e64 v12, 0, 1, s0
	v_cmp_ne_u32_e64 s0, 0, v0
	v_or_b32_e32 v12, v17, v12
	v_cndmask_b32_e64 v0, 0, 1, s0
	v_cmp_ne_u32_e64 s0, 0, v3
	v_lshl_or_b32 v17, v7, 12, v15
	v_and_or_b32 v0, 0xffe, v16, v0
	v_cndmask_b32_e64 v3, 0, 1, s0
	v_cmp_gt_i32_e64 s0, 1, v7
	v_sub_nc_u32_e32 v16, 0x3f1, v18
	v_lshl_or_b32 v3, v3, 9, 0x7c00
	v_cndmask_b32_e64 v12, v17, v12, s0
	v_cmp_eq_u32_e64 s0, 0x40f, v19
	v_or_b32_e32 v17, 0x1000, v0
	v_med3_i32 v16, v16, 0, 13
	v_lshrrev_b32_e32 v19, 16, v4
	v_and_b32_e32 v24, 7, v12
	v_cndmask_b32_e64 v14, v14, v3, s0
	v_mul_f64 v[3:4], v[9:10], s[4:5]
	v_lshrrev_b32_e32 v28, v16, v17
	v_add_co_u32 v5, s0, v5, s6
	v_add_co_ci_u32_e64 v6, s0, s7, v6, s0
	v_lshlrev_b32_e32 v10, v16, v28
	v_mul_f16_sdwa v9, v58, v29 dst_sel:DWORD dst_unused:UNUSED_PAD src0_sel:WORD_1 src1_sel:DWORD
	v_cmp_lt_i32_e64 s0, 5, v24
	v_cmp_eq_u32_e64 s1, 3, v24
	v_lshrrev_b32_e32 v12, 2, v12
	v_cmp_ne_u32_e64 s2, v10, v17
	v_fmac_f16_e32 v9, v58, v8
	v_add_nc_u32_e32 v16, 0xfffffc10, v18
	s_or_b32 s0, s1, s0
	v_and_or_b32 v14, 0x8000, v19, v14
	v_add_co_ci_u32_e64 v12, s0, 0, v12, s0
	v_cndmask_b32_e64 v10, 0, 1, s2
	v_cmp_ne_u32_e64 s0, 0, v15
	v_cvt_f32_f16_e32 v9, v9
	v_lshl_or_b32 v18, v16, 12, v0
	v_and_or_b32 v3, 0x1ff, v4, v3
	v_or_b32_e32 v17, v28, v10
	v_cndmask_b32_e64 v15, 0, 1, s0
	v_cmp_gt_i32_e64 s0, 1, v16
	v_cvt_f64_f32_e32 v[9:10], v9
	v_bfe_u32 v19, v4, 20, 11
	v_and_b32_e32 v14, 0xffff, v14
	v_lshl_or_b32 v15, v15, 9, 0x7c00
	v_cndmask_b32_e64 v17, v18, v17, s0
	v_cmp_ne_u32_e64 s0, 0, v3
	v_lshrrev_b32_e32 v18, 8, v4
	v_mul_f16_sdwa v8, v58, v8 dst_sel:DWORD dst_unused:UNUSED_PAD src0_sel:WORD_1 src1_sel:DWORD
	v_and_b32_e32 v24, 7, v17
	v_cndmask_b32_e64 v3, 0, 1, s0
	v_cmp_gt_i32_e64 s0, 31, v7
	v_fma_f16 v8, v58, v29, -v8
	v_cmp_eq_u32_e64 s1, 3, v24
	v_and_or_b32 v3, 0xffe, v18, v3
	v_cndmask_b32_e64 v12, 0x7c00, v12, s0
	v_cmp_eq_u32_e64 s0, 0x40f, v7
	ds_read_b32 v18, v56 offset:3000
	v_cndmask_b32_e64 v7, v12, v15, s0
	v_sub_nc_u32_e32 v12, 0x3f1, v19
	v_cmp_lt_i32_e64 s0, 5, v24
	v_mul_f64 v[9:10], v[9:10], s[4:5]
	v_or_b32_e32 v15, 0x1000, v3
	v_and_or_b32 v7, 0x8000, v11, v7
	v_lshrrev_b32_e32 v11, 2, v17
	v_med3_i32 v12, v12, 0, 13
	s_or_b32 s0, s1, s0
	v_lshl_or_b32 v14, v7, 16, v14
	v_add_co_ci_u32_e64 v11, s0, 0, v11, s0
	v_lshrrev_b32_e32 v17, v12, v15
	v_cmp_ne_u32_e64 s0, 0, v0
	v_lshlrev_b32_e32 v7, v12, v17
	v_cndmask_b32_e64 v0, 0, 1, s0
	v_cmp_gt_i32_e64 s0, 31, v16
	v_lshl_or_b32 v0, v0, 9, 0x7c00
	v_cndmask_b32_e64 v11, 0x7c00, v11, s0
	v_cmp_ne_u32_e64 s0, v7, v15
	v_and_or_b32 v9, 0x1ff, v10, v9
	v_add_nc_u32_e32 v15, 0xfffffc10, v19
	v_cndmask_b32_e64 v7, 0, 1, s0
	v_cmp_eq_u32_e64 s0, 0x40f, v16
	v_lshl_or_b32 v12, v15, 12, v3
	v_lshrrev_b32_e32 v16, 8, v10
	v_cndmask_b32_e64 v0, v11, v0, s0
	v_cmp_ne_u32_e64 s0, 0, v9
	v_or_b32_e32 v11, v17, v7
	v_cvt_f32_f16_e32 v7, v8
	v_bfe_u32 v17, v10, 20, 11
	v_and_or_b32 v31, 0x8000, v1, v0
	v_cndmask_b32_e64 v9, 0, 1, s0
	v_cmp_gt_i32_e64 s0, 1, v15
	v_cvt_f64_f32_e32 v[7:8], v7
	v_lshrrev_b32_e32 v10, 16, v10
	v_and_or_b32 v9, 0xffe, v16, v9
	v_cndmask_b32_e64 v19, v12, v11, s0
	v_sub_nc_u32_e32 v11, 0x3f1, v17
	s_waitcnt lgkmcnt(0)
	v_lshrrev_b32_e32 v16, 16, v18
	v_add_nc_u32_e32 v17, 0xfffffc10, v17
	v_or_b32_e32 v28, 0x1000, v9
	v_and_b32_e32 v24, 7, v19
	v_med3_i32 v29, v11, 0, 13
	v_mul_f16_sdwa v30, v57, v16 dst_sel:DWORD dst_unused:UNUSED_PAD src0_sel:WORD_1 src1_sel:DWORD
	v_add_co_u32 v11, s0, v5, s6
	v_add_co_ci_u32_e64 v12, s0, s7, v6, s0
	v_lshrrev_b32_e32 v32, v29, v28
	v_fmac_f16_e32 v30, v57, v18
	v_cmp_lt_i32_e64 s0, 5, v24
	v_cmp_eq_u32_e64 s1, 3, v24
	v_lshrrev_b32_e32 v19, 2, v19
	v_lshlrev_b32_e32 v24, v29, v32
	v_cvt_f32_f16_e32 v29, v30
	v_mul_f64 v[0:1], v[7:8], s[4:5]
	s_or_b32 s0, s1, s0
	v_mul_f16_sdwa v18, v57, v18 dst_sel:DWORD dst_unused:UNUSED_PAD src0_sel:WORD_1 src1_sel:DWORD
	v_add_co_ci_u32_e64 v19, s0, 0, v19, s0
	v_cmp_ne_u32_e64 s0, v24, v28
	v_cvt_f64_f32_e32 v[7:8], v29
	v_lshl_or_b32 v28, v17, 12, v9
	v_fma_f16 v16, v57, v16, -v18
	v_cndmask_b32_e64 v24, 0, 1, s0
	v_cmp_ne_u32_e64 s0, 0, v3
	v_cvt_f32_f16_e32 v16, v16
	v_or_b32_e32 v24, v32, v24
	v_cndmask_b32_e64 v3, 0, 1, s0
	v_cmp_gt_i32_e64 s0, 31, v15
	v_lshl_or_b32 v3, v3, 9, 0x7c00
	v_cndmask_b32_e64 v18, 0x7c00, v19, s0
	v_cmp_gt_i32_e64 s0, 1, v17
	v_and_or_b32 v0, 0x1ff, v1, v0
	v_cndmask_b32_e64 v19, v28, v24, s0
	v_cmp_eq_u32_e64 s0, 0x40f, v15
	v_mul_f64 v[7:8], v[7:8], s[4:5]
	v_lshrrev_b32_e32 v24, 8, v1
	v_bfe_u32 v28, v1, 20, 11
	v_lshrrev_b32_e32 v1, 16, v1
	v_cndmask_b32_e64 v15, v18, v3, s0
	v_lshrrev_b32_e32 v18, 16, v4
	v_cvt_f64_f32_e32 v[3:4], v16
	v_cmp_ne_u32_e64 s0, 0, v0
	v_and_b32_e32 v16, 7, v19
	v_and_or_b32 v15, 0x8000, v18, v15
	v_and_b32_e32 v18, 0xffff, v31
	v_cndmask_b32_e64 v0, 0, 1, s0
	v_cmp_lt_i32_e64 s0, 5, v16
	v_cmp_eq_u32_e64 s1, 3, v16
	v_lshrrev_b32_e32 v16, 2, v19
	v_lshl_or_b32 v15, v15, 16, v18
	v_and_or_b32 v0, 0xffe, v24, v0
	v_sub_nc_u32_e32 v24, 0x3f1, v28
	s_or_b32 s0, s1, s0
	v_add_co_ci_u32_e64 v16, s0, 0, v16, s0
	v_or_b32_e32 v18, 0x1000, v0
	v_med3_i32 v19, v24, 0, 13
	v_cmp_ne_u32_e64 s0, 0, v9
	v_and_or_b32 v7, 0x1ff, v8, v7
	v_lshrrev_b32_e32 v29, 8, v8
	v_mul_f64 v[3:4], v[3:4], s[4:5]
	v_lshrrev_b32_e32 v24, v19, v18
	v_cndmask_b32_e64 v9, 0, 1, s0
	v_cmp_gt_i32_e64 s0, 31, v17
	v_bfe_u32 v30, v8, 20, 11
	v_lshrrev_b32_e32 v8, 16, v8
	v_lshlrev_b32_e32 v19, v19, v24
	v_lshl_or_b32 v9, v9, 9, 0x7c00
	v_cndmask_b32_e64 v16, 0x7c00, v16, s0
	v_cmp_ne_u32_e64 s0, 0, v7
	v_cndmask_b32_e64 v7, 0, 1, s0
	v_cmp_ne_u32_e64 s0, v19, v18
	v_add_nc_u32_e32 v19, 0xfffffc10, v28
	v_sub_nc_u32_e32 v28, 0x3f1, v30
	v_and_or_b32 v7, 0xffe, v29, v7
	v_cndmask_b32_e64 v18, 0, 1, s0
	v_cmp_eq_u32_e64 s0, 0x40f, v17
	v_lshl_or_b32 v17, v19, 12, v0
	v_and_or_b32 v3, 0x1ff, v4, v3
	v_bfe_u32 v29, v4, 20, 11
	v_cndmask_b32_e64 v9, v16, v9, s0
	v_or_b32_e32 v16, v24, v18
	v_or_b32_e32 v18, 0x1000, v7
	v_med3_i32 v24, v28, 0, 13
	v_cmp_gt_i32_e64 s0, 1, v19
	v_lshrrev_b32_e32 v28, 8, v4
	v_and_or_b32 v9, 0x8000, v10, v9
	v_sub_nc_u32_e32 v10, 0x3f1, v29
	v_cndmask_b32_e64 v16, v17, v16, s0
	v_lshrrev_b32_e32 v17, v24, v18
	v_cmp_ne_u32_e64 s0, 0, v3
	v_med3_i32 v10, v10, 0, 13
	v_and_b32_e32 v31, 7, v16
	v_lshlrev_b32_e32 v24, v24, v17
	v_cndmask_b32_e64 v3, 0, 1, s0
	v_lshrrev_b32_e32 v16, 2, v16
	v_cmp_lt_i32_e64 s0, 5, v31
	v_cmp_ne_u32_e64 s1, v24, v18
	v_and_or_b32 v3, 0xffe, v28, v3
	v_add_nc_u32_e32 v28, 0xfffffc10, v30
	v_cndmask_b32_e64 v18, 0, 1, s1
	v_cmp_eq_u32_e64 s1, 3, v31
	v_or_b32_e32 v24, 0x1000, v3
	v_lshl_or_b32 v30, v28, 12, v7
	v_or_b32_e32 v17, v17, v18
	s_or_b32 s0, s1, s0
	v_lshrrev_b32_e32 v18, v10, v24
	v_add_co_ci_u32_e64 v16, s0, 0, v16, s0
	v_cmp_gt_i32_e64 s0, 1, v28
	v_lshlrev_b32_e32 v10, v10, v18
	v_cndmask_b32_e64 v17, v30, v17, s0
	v_cmp_ne_u32_e64 s0, 0, v0
	v_cndmask_b32_e64 v0, 0, 1, s0
	v_cmp_ne_u32_e64 s0, v10, v24
	v_add_nc_u32_e32 v24, 0xfffffc10, v29
	v_and_b32_e32 v29, 7, v17
	v_lshl_or_b32 v0, v0, 9, 0x7c00
	v_cndmask_b32_e64 v10, 0, 1, s0
	v_cmp_gt_i32_e64 s0, 31, v19
	v_cmp_gt_i32_e64 s2, 1, v24
	v_cmp_eq_u32_e64 s1, 3, v29
	v_or_b32_e32 v10, v18, v10
	v_lshl_or_b32 v18, v24, 12, v3
	v_cndmask_b32_e64 v16, 0x7c00, v16, s0
	v_cmp_lt_i32_e64 s0, 5, v29
	v_cndmask_b32_e64 v10, v18, v10, s2
	v_cmp_eq_u32_e64 s2, 0x40f, v19
	s_or_b32 s0, s1, s0
	v_cndmask_b32_e64 v0, v16, v0, s2
	v_lshrrev_b32_e32 v16, 2, v17
	v_and_b32_e32 v17, 7, v10
	v_lshrrev_b32_e32 v10, 2, v10
	v_cmp_gt_i32_e64 s2, 31, v28
	v_and_or_b32 v0, 0x8000, v1, v0
	v_add_co_ci_u32_e64 v16, s0, 0, v16, s0
	v_cmp_ne_u32_e64 s0, 0, v7
	v_cmp_eq_u32_e64 s1, 3, v17
	v_and_b32_e32 v1, 0xffff, v9
	v_cndmask_b32_e64 v16, 0x7c00, v16, s2
	v_lshrrev_b32_e32 v9, 16, v4
	v_cndmask_b32_e64 v7, 0, 1, s0
	v_cmp_lt_i32_e64 s0, 5, v17
	v_lshl_or_b32 v7, v7, 9, 0x7c00
	s_or_b32 s0, s1, s0
	v_add_co_ci_u32_e64 v10, s0, 0, v10, s0
	v_cmp_ne_u32_e64 s0, 0, v3
	v_cndmask_b32_e64 v3, 0, 1, s0
	v_cmp_eq_u32_e64 s0, 0x40f, v28
	v_lshl_or_b32 v3, v3, 9, 0x7c00
	v_cndmask_b32_e64 v7, v16, v7, s0
	v_cmp_gt_i32_e64 s0, 31, v24
	v_and_or_b32 v7, 0x8000, v8, v7
	v_cndmask_b32_e64 v10, 0x7c00, v10, s0
	v_cmp_eq_u32_e64 s0, 0x40f, v24
	v_cndmask_b32_e64 v8, v10, v3, s0
	v_add_co_u32 v3, s0, v11, s6
	v_add_co_ci_u32_e64 v4, s0, s7, v12, s0
	v_lshl_or_b32 v10, v0, 16, v1
	v_and_or_b32 v0, 0x8000, v9, v8
	v_and_b32_e32 v1, 0xffff, v7
	v_add_co_u32 v7, s0, v3, s6
	v_add_co_ci_u32_e64 v8, s0, s7, v4, s0
	v_lshl_or_b32 v9, v0, 16, v1
	v_add_co_u32 v0, s0, v7, s6
	v_add_co_ci_u32_e64 v1, s0, s7, v8, s0
	global_store_dword v[5:6], v13, off
	global_store_dword v[11:12], v14, off
	;; [unrolled: 1-line block ×5, first 2 shown]
	s_and_b32 exec_lo, exec_lo, vcc_lo
	s_cbranch_execz .LBB0_15
; %bb.14:
	global_load_dword v5, v[22:23], off offset:220
	ds_read2_b32 v[3:4], v56 offset0:55 offset1:130
	v_mad_u64_u32 v[0:1], null, 0xfffff524, s8, v[0:1]
	s_waitcnt lgkmcnt(0)
	v_lshrrev_b32_e32 v6, 16, v3
	s_waitcnt vmcnt(0)
	v_mul_f16_sdwa v7, v6, v5 dst_sel:DWORD dst_unused:UNUSED_PAD src0_sel:DWORD src1_sel:WORD_1
	v_mul_f16_sdwa v8, v3, v5 dst_sel:DWORD dst_unused:UNUSED_PAD src0_sel:DWORD src1_sel:WORD_1
	v_fmac_f16_e32 v7, v3, v5
	v_fma_f16 v3, v5, v6, -v8
	v_cvt_f32_f16_e32 v5, v7
	v_cvt_f32_f16_e32 v3, v3
	v_cvt_f64_f32_e32 v[5:6], v5
	v_cvt_f64_f32_e32 v[7:8], v3
	v_mul_f64 v[5:6], v[5:6], s[4:5]
	v_mul_f64 v[7:8], v[7:8], s[4:5]
	v_and_or_b32 v3, 0x1ff, v6, v5
	v_and_or_b32 v7, 0x1ff, v8, v7
	v_lshrrev_b32_e32 v5, 8, v6
	v_bfe_u32 v9, v6, 20, 11
	v_lshrrev_b32_e32 v10, 8, v8
	v_cmp_ne_u32_e32 vcc_lo, 0, v3
	v_bfe_u32 v11, v8, 20, 11
	v_lshrrev_b32_e32 v6, 16, v6
	v_sub_nc_u32_e32 v12, 0x3f1, v9
	v_add_nc_u32_e32 v9, 0xfffffc10, v9
	v_cndmask_b32_e64 v3, 0, 1, vcc_lo
	v_cmp_ne_u32_e32 vcc_lo, 0, v7
	v_lshrrev_b32_e32 v8, 16, v8
	v_and_or_b32 v3, 0xffe, v5, v3
	v_cndmask_b32_e64 v7, 0, 1, vcc_lo
	v_sub_nc_u32_e32 v5, 0x3f1, v11
	v_add_nc_u32_e32 v11, 0xfffffc10, v11
	v_and_or_b32 v7, 0xffe, v10, v7
	v_med3_i32 v10, v12, 0, 13
	v_or_b32_e32 v12, 0x1000, v3
	v_med3_i32 v5, v5, 0, 13
	v_or_b32_e32 v13, 0x1000, v7
	v_lshrrev_b32_e32 v14, v10, v12
	v_lshrrev_b32_e32 v15, v5, v13
	v_lshlrev_b32_e32 v10, v10, v14
	v_lshlrev_b32_e32 v5, v5, v15
	v_cmp_ne_u32_e32 vcc_lo, v10, v12
	v_lshl_or_b32 v12, v9, 12, v3
	v_cndmask_b32_e64 v10, 0, 1, vcc_lo
	v_cmp_ne_u32_e32 vcc_lo, v5, v13
	v_lshl_or_b32 v13, v11, 12, v7
	v_or_b32_e32 v10, v14, v10
	v_cndmask_b32_e64 v5, 0, 1, vcc_lo
	v_cmp_gt_i32_e32 vcc_lo, 1, v9
	v_or_b32_e32 v5, v15, v5
	v_cndmask_b32_e32 v10, v12, v10, vcc_lo
	v_cmp_gt_i32_e32 vcc_lo, 1, v11
	v_and_b32_e32 v12, 7, v10
	v_cndmask_b32_e32 v5, v13, v5, vcc_lo
	v_cmp_ne_u32_e32 vcc_lo, 0, v3
	v_lshrrev_b32_e32 v10, 2, v10
	v_cmp_eq_u32_e64 s0, 3, v12
	v_and_b32_e32 v13, 7, v5
	v_cndmask_b32_e64 v3, 0, 1, vcc_lo
	v_cmp_ne_u32_e32 vcc_lo, 0, v7
	v_lshrrev_b32_e32 v5, 2, v5
	v_cmp_lt_i32_e64 s1, 5, v13
	v_cmp_eq_u32_e64 s2, 3, v13
	v_cndmask_b32_e64 v7, 0, 1, vcc_lo
	v_cmp_lt_i32_e32 vcc_lo, 5, v12
	v_lshl_or_b32 v3, v3, 9, 0x7c00
	v_lshl_or_b32 v7, v7, 9, 0x7c00
	s_or_b32 vcc_lo, s0, vcc_lo
	s_mul_i32 s0, s9, 0xfffff524
	v_add_co_ci_u32_e32 v10, vcc_lo, 0, v10, vcc_lo
	s_or_b32 vcc_lo, s2, s1
	s_sub_i32 s0, s0, s8
	v_add_co_ci_u32_e32 v5, vcc_lo, 0, v5, vcc_lo
	v_cmp_gt_i32_e32 vcc_lo, 31, v9
	v_add_nc_u32_e32 v1, s0, v1
	v_cndmask_b32_e32 v10, 0x7c00, v10, vcc_lo
	v_cmp_gt_i32_e32 vcc_lo, 31, v11
	v_cndmask_b32_e32 v5, 0x7c00, v5, vcc_lo
	v_cmp_eq_u32_e32 vcc_lo, 0x40f, v9
	v_cndmask_b32_e32 v3, v10, v3, vcc_lo
	v_cmp_eq_u32_e32 vcc_lo, 0x40f, v11
	v_and_or_b32 v3, 0x8000, v6, v3
	v_cndmask_b32_e32 v5, v5, v7, vcc_lo
	v_and_b32_e32 v3, 0xffff, v3
	v_and_or_b32 v5, 0x8000, v8, v5
	v_lshl_or_b32 v3, v5, 16, v3
	v_lshrrev_b32_e32 v5, 16, v4
	global_store_dword v[0:1], v3, off
	global_load_dword v3, v[22:23], off offset:520
	s_waitcnt vmcnt(0)
	v_mul_f16_sdwa v6, v5, v3 dst_sel:DWORD dst_unused:UNUSED_PAD src0_sel:DWORD src1_sel:WORD_1
	v_mul_f16_sdwa v7, v4, v3 dst_sel:DWORD dst_unused:UNUSED_PAD src0_sel:DWORD src1_sel:WORD_1
	v_fmac_f16_e32 v6, v4, v3
	v_fma_f16 v3, v3, v5, -v7
	v_cvt_f32_f16_e32 v4, v6
	v_cvt_f32_f16_e32 v5, v3
	v_cvt_f64_f32_e32 v[3:4], v4
	v_cvt_f64_f32_e32 v[5:6], v5
	v_mul_f64 v[3:4], v[3:4], s[4:5]
	v_mul_f64 v[5:6], v[5:6], s[4:5]
	v_and_or_b32 v3, 0x1ff, v4, v3
	v_and_or_b32 v5, 0x1ff, v6, v5
	v_lshrrev_b32_e32 v7, 8, v4
	v_bfe_u32 v8, v4, 20, 11
	v_lshrrev_b32_e32 v9, 8, v6
	v_cmp_ne_u32_e32 vcc_lo, 0, v3
	v_bfe_u32 v10, v6, 20, 11
	v_lshrrev_b32_e32 v4, 16, v4
	v_sub_nc_u32_e32 v11, 0x3f1, v8
	v_add_nc_u32_e32 v8, 0xfffffc10, v8
	v_cndmask_b32_e64 v3, 0, 1, vcc_lo
	v_cmp_ne_u32_e32 vcc_lo, 0, v5
	v_lshrrev_b32_e32 v6, 16, v6
	v_and_or_b32 v3, 0xffe, v7, v3
	v_cndmask_b32_e64 v5, 0, 1, vcc_lo
	v_sub_nc_u32_e32 v7, 0x3f1, v10
	v_add_nc_u32_e32 v10, 0xfffffc10, v10
	v_and_or_b32 v5, 0xffe, v9, v5
	v_med3_i32 v9, v11, 0, 13
	v_or_b32_e32 v11, 0x1000, v3
	v_med3_i32 v7, v7, 0, 13
	v_or_b32_e32 v12, 0x1000, v5
	v_lshrrev_b32_e32 v13, v9, v11
	v_lshrrev_b32_e32 v14, v7, v12
	v_lshlrev_b32_e32 v9, v9, v13
	v_lshlrev_b32_e32 v7, v7, v14
	v_cmp_ne_u32_e32 vcc_lo, v9, v11
	v_lshl_or_b32 v11, v8, 12, v3
	v_cndmask_b32_e64 v9, 0, 1, vcc_lo
	v_cmp_ne_u32_e32 vcc_lo, v7, v12
	v_lshl_or_b32 v12, v10, 12, v5
	v_or_b32_e32 v9, v13, v9
	v_cndmask_b32_e64 v7, 0, 1, vcc_lo
	v_cmp_gt_i32_e32 vcc_lo, 1, v8
	v_or_b32_e32 v7, v14, v7
	v_cndmask_b32_e32 v9, v11, v9, vcc_lo
	v_cmp_gt_i32_e32 vcc_lo, 1, v10
	v_and_b32_e32 v11, 7, v9
	v_cndmask_b32_e32 v7, v12, v7, vcc_lo
	v_cmp_ne_u32_e32 vcc_lo, 0, v3
	v_lshrrev_b32_e32 v9, 2, v9
	v_cmp_eq_u32_e64 s0, 3, v11
	v_and_b32_e32 v12, 7, v7
	v_cndmask_b32_e64 v3, 0, 1, vcc_lo
	v_cmp_ne_u32_e32 vcc_lo, 0, v5
	v_lshrrev_b32_e32 v7, 2, v7
	v_cmp_lt_i32_e64 s1, 5, v12
	v_cmp_eq_u32_e64 s2, 3, v12
	v_cndmask_b32_e64 v5, 0, 1, vcc_lo
	v_cmp_lt_i32_e32 vcc_lo, 5, v11
	v_lshl_or_b32 v3, v3, 9, 0x7c00
	v_lshl_or_b32 v5, v5, 9, 0x7c00
	s_or_b32 vcc_lo, s0, vcc_lo
	v_add_co_ci_u32_e32 v9, vcc_lo, 0, v9, vcc_lo
	s_or_b32 vcc_lo, s2, s1
	v_add_co_ci_u32_e32 v7, vcc_lo, 0, v7, vcc_lo
	v_cmp_gt_i32_e32 vcc_lo, 31, v8
	v_cndmask_b32_e32 v9, 0x7c00, v9, vcc_lo
	v_cmp_gt_i32_e32 vcc_lo, 31, v10
	v_cndmask_b32_e32 v7, 0x7c00, v7, vcc_lo
	v_cmp_eq_u32_e32 vcc_lo, 0x40f, v8
	v_cndmask_b32_e32 v3, v9, v3, vcc_lo
	v_cmp_eq_u32_e32 vcc_lo, 0x40f, v10
	v_and_or_b32 v3, 0x8000, v4, v3
	v_cndmask_b32_e32 v5, v7, v5, vcc_lo
	v_add_co_u32 v0, vcc_lo, v0, s6
	v_add_co_ci_u32_e32 v1, vcc_lo, s7, v1, vcc_lo
	v_and_or_b32 v4, 0x8000, v6, v5
	v_and_b32_e32 v3, 0xffff, v3
	v_lshl_or_b32 v3, v4, 16, v3
	global_store_dword v[0:1], v3, off
	global_load_dword v5, v[22:23], off offset:820
	ds_read2_b32 v[3:4], v27 offset0:77 offset1:152
	s_waitcnt lgkmcnt(0)
	v_lshrrev_b32_e32 v6, 16, v3
	s_waitcnt vmcnt(0)
	v_mul_f16_sdwa v7, v6, v5 dst_sel:DWORD dst_unused:UNUSED_PAD src0_sel:DWORD src1_sel:WORD_1
	v_mul_f16_sdwa v8, v3, v5 dst_sel:DWORD dst_unused:UNUSED_PAD src0_sel:DWORD src1_sel:WORD_1
	v_fmac_f16_e32 v7, v3, v5
	v_fma_f16 v3, v5, v6, -v8
	v_cvt_f32_f16_e32 v5, v7
	v_cvt_f32_f16_e32 v3, v3
	v_cvt_f64_f32_e32 v[5:6], v5
	v_cvt_f64_f32_e32 v[7:8], v3
	v_mul_f64 v[5:6], v[5:6], s[4:5]
	v_mul_f64 v[7:8], v[7:8], s[4:5]
	v_and_or_b32 v3, 0x1ff, v6, v5
	v_and_or_b32 v7, 0x1ff, v8, v7
	v_lshrrev_b32_e32 v5, 8, v6
	v_bfe_u32 v9, v6, 20, 11
	v_lshrrev_b32_e32 v10, 8, v8
	v_cmp_ne_u32_e32 vcc_lo, 0, v3
	v_bfe_u32 v11, v8, 20, 11
	v_lshrrev_b32_e32 v6, 16, v6
	v_sub_nc_u32_e32 v12, 0x3f1, v9
	v_add_nc_u32_e32 v9, 0xfffffc10, v9
	v_cndmask_b32_e64 v3, 0, 1, vcc_lo
	v_cmp_ne_u32_e32 vcc_lo, 0, v7
	v_lshrrev_b32_e32 v8, 16, v8
	v_and_or_b32 v3, 0xffe, v5, v3
	v_cndmask_b32_e64 v7, 0, 1, vcc_lo
	v_sub_nc_u32_e32 v5, 0x3f1, v11
	v_add_nc_u32_e32 v11, 0xfffffc10, v11
	v_and_or_b32 v7, 0xffe, v10, v7
	v_med3_i32 v10, v12, 0, 13
	v_or_b32_e32 v12, 0x1000, v3
	v_med3_i32 v5, v5, 0, 13
	v_or_b32_e32 v13, 0x1000, v7
	v_lshrrev_b32_e32 v14, v10, v12
	v_lshrrev_b32_e32 v15, v5, v13
	v_lshlrev_b32_e32 v10, v10, v14
	v_lshlrev_b32_e32 v5, v5, v15
	v_cmp_ne_u32_e32 vcc_lo, v10, v12
	v_lshl_or_b32 v12, v9, 12, v3
	v_cndmask_b32_e64 v10, 0, 1, vcc_lo
	v_cmp_ne_u32_e32 vcc_lo, v5, v13
	v_lshl_or_b32 v13, v11, 12, v7
	v_or_b32_e32 v10, v14, v10
	v_cndmask_b32_e64 v5, 0, 1, vcc_lo
	v_cmp_gt_i32_e32 vcc_lo, 1, v9
	v_or_b32_e32 v5, v15, v5
	v_cndmask_b32_e32 v10, v12, v10, vcc_lo
	v_cmp_gt_i32_e32 vcc_lo, 1, v11
	v_and_b32_e32 v12, 7, v10
	v_cndmask_b32_e32 v5, v13, v5, vcc_lo
	v_cmp_ne_u32_e32 vcc_lo, 0, v3
	v_lshrrev_b32_e32 v10, 2, v10
	v_cmp_eq_u32_e64 s0, 3, v12
	v_and_b32_e32 v13, 7, v5
	v_cndmask_b32_e64 v3, 0, 1, vcc_lo
	v_cmp_ne_u32_e32 vcc_lo, 0, v7
	v_lshrrev_b32_e32 v5, 2, v5
	v_cmp_lt_i32_e64 s1, 5, v13
	v_cmp_eq_u32_e64 s2, 3, v13
	v_cndmask_b32_e64 v7, 0, 1, vcc_lo
	v_cmp_lt_i32_e32 vcc_lo, 5, v12
	v_lshl_or_b32 v3, v3, 9, 0x7c00
	v_lshl_or_b32 v7, v7, 9, 0x7c00
	s_or_b32 vcc_lo, s0, vcc_lo
	v_add_co_ci_u32_e32 v10, vcc_lo, 0, v10, vcc_lo
	s_or_b32 vcc_lo, s2, s1
	v_add_co_ci_u32_e32 v5, vcc_lo, 0, v5, vcc_lo
	v_cmp_gt_i32_e32 vcc_lo, 31, v9
	v_cndmask_b32_e32 v10, 0x7c00, v10, vcc_lo
	v_cmp_gt_i32_e32 vcc_lo, 31, v11
	v_cndmask_b32_e32 v5, 0x7c00, v5, vcc_lo
	v_cmp_eq_u32_e32 vcc_lo, 0x40f, v9
	v_cndmask_b32_e32 v3, v10, v3, vcc_lo
	v_cmp_eq_u32_e32 vcc_lo, 0x40f, v11
	v_and_or_b32 v3, 0x8000, v6, v3
	v_cndmask_b32_e32 v5, v5, v7, vcc_lo
	v_add_co_u32 v0, vcc_lo, v0, s6
	v_add_co_ci_u32_e32 v1, vcc_lo, s7, v1, vcc_lo
	v_and_or_b32 v5, 0x8000, v8, v5
	v_and_b32_e32 v3, 0xffff, v3
	v_lshl_or_b32 v3, v5, 16, v3
	v_lshrrev_b32_e32 v5, 16, v4
	global_store_dword v[0:1], v3, off
	global_load_dword v3, v[22:23], off offset:1120
	s_waitcnt vmcnt(0)
	v_mul_f16_sdwa v6, v5, v3 dst_sel:DWORD dst_unused:UNUSED_PAD src0_sel:DWORD src1_sel:WORD_1
	v_mul_f16_sdwa v7, v4, v3 dst_sel:DWORD dst_unused:UNUSED_PAD src0_sel:DWORD src1_sel:WORD_1
	v_fmac_f16_e32 v6, v4, v3
	v_fma_f16 v3, v3, v5, -v7
	v_cvt_f32_f16_e32 v4, v6
	v_cvt_f32_f16_e32 v5, v3
	v_cvt_f64_f32_e32 v[3:4], v4
	v_cvt_f64_f32_e32 v[5:6], v5
	v_mul_f64 v[3:4], v[3:4], s[4:5]
	v_mul_f64 v[5:6], v[5:6], s[4:5]
	v_and_or_b32 v3, 0x1ff, v4, v3
	v_and_or_b32 v5, 0x1ff, v6, v5
	v_lshrrev_b32_e32 v7, 8, v4
	v_bfe_u32 v8, v4, 20, 11
	v_lshrrev_b32_e32 v9, 8, v6
	v_cmp_ne_u32_e32 vcc_lo, 0, v3
	v_bfe_u32 v10, v6, 20, 11
	v_lshrrev_b32_e32 v4, 16, v4
	v_sub_nc_u32_e32 v11, 0x3f1, v8
	v_add_nc_u32_e32 v8, 0xfffffc10, v8
	v_cndmask_b32_e64 v3, 0, 1, vcc_lo
	v_cmp_ne_u32_e32 vcc_lo, 0, v5
	v_lshrrev_b32_e32 v6, 16, v6
	v_and_or_b32 v3, 0xffe, v7, v3
	v_cndmask_b32_e64 v5, 0, 1, vcc_lo
	v_sub_nc_u32_e32 v7, 0x3f1, v10
	v_add_nc_u32_e32 v10, 0xfffffc10, v10
	v_and_or_b32 v5, 0xffe, v9, v5
	v_med3_i32 v9, v11, 0, 13
	v_or_b32_e32 v11, 0x1000, v3
	v_med3_i32 v7, v7, 0, 13
	v_or_b32_e32 v12, 0x1000, v5
	v_lshrrev_b32_e32 v13, v9, v11
	v_lshrrev_b32_e32 v14, v7, v12
	v_lshlrev_b32_e32 v9, v9, v13
	v_lshlrev_b32_e32 v7, v7, v14
	v_cmp_ne_u32_e32 vcc_lo, v9, v11
	v_lshl_or_b32 v11, v8, 12, v3
	v_cndmask_b32_e64 v9, 0, 1, vcc_lo
	v_cmp_ne_u32_e32 vcc_lo, v7, v12
	v_lshl_or_b32 v12, v10, 12, v5
	v_or_b32_e32 v9, v13, v9
	v_cndmask_b32_e64 v7, 0, 1, vcc_lo
	v_cmp_gt_i32_e32 vcc_lo, 1, v8
	v_or_b32_e32 v7, v14, v7
	v_cndmask_b32_e32 v9, v11, v9, vcc_lo
	v_cmp_gt_i32_e32 vcc_lo, 1, v10
	v_and_b32_e32 v11, 7, v9
	v_cndmask_b32_e32 v7, v12, v7, vcc_lo
	v_cmp_ne_u32_e32 vcc_lo, 0, v3
	v_lshrrev_b32_e32 v9, 2, v9
	v_cmp_eq_u32_e64 s0, 3, v11
	v_and_b32_e32 v12, 7, v7
	v_cndmask_b32_e64 v3, 0, 1, vcc_lo
	v_cmp_ne_u32_e32 vcc_lo, 0, v5
	v_lshrrev_b32_e32 v7, 2, v7
	v_cmp_lt_i32_e64 s1, 5, v12
	v_cmp_eq_u32_e64 s2, 3, v12
	v_cndmask_b32_e64 v5, 0, 1, vcc_lo
	v_cmp_lt_i32_e32 vcc_lo, 5, v11
	v_lshl_or_b32 v3, v3, 9, 0x7c00
	v_lshl_or_b32 v5, v5, 9, 0x7c00
	s_or_b32 vcc_lo, s0, vcc_lo
	v_add_co_ci_u32_e32 v9, vcc_lo, 0, v9, vcc_lo
	s_or_b32 vcc_lo, s2, s1
	v_add_co_ci_u32_e32 v7, vcc_lo, 0, v7, vcc_lo
	v_cmp_gt_i32_e32 vcc_lo, 31, v8
	v_cndmask_b32_e32 v9, 0x7c00, v9, vcc_lo
	v_cmp_gt_i32_e32 vcc_lo, 31, v10
	v_cndmask_b32_e32 v7, 0x7c00, v7, vcc_lo
	v_cmp_eq_u32_e32 vcc_lo, 0x40f, v8
	v_cndmask_b32_e32 v3, v9, v3, vcc_lo
	v_cmp_eq_u32_e32 vcc_lo, 0x40f, v10
	v_and_or_b32 v3, 0x8000, v4, v3
	v_cndmask_b32_e32 v5, v7, v5, vcc_lo
	v_add_co_u32 v0, vcc_lo, v0, s6
	v_add_co_ci_u32_e32 v1, vcc_lo, s7, v1, vcc_lo
	v_and_or_b32 v4, 0x8000, v6, v5
	v_and_b32_e32 v3, 0xffff, v3
	v_lshl_or_b32 v3, v4, 16, v3
	global_store_dword v[0:1], v3, off
	global_load_dword v5, v[22:23], off offset:1420
	ds_read2_b32 v[3:4], v26 offset0:99 offset1:174
	s_waitcnt lgkmcnt(0)
	v_lshrrev_b32_e32 v6, 16, v3
	s_waitcnt vmcnt(0)
	v_mul_f16_sdwa v7, v6, v5 dst_sel:DWORD dst_unused:UNUSED_PAD src0_sel:DWORD src1_sel:WORD_1
	v_mul_f16_sdwa v8, v3, v5 dst_sel:DWORD dst_unused:UNUSED_PAD src0_sel:DWORD src1_sel:WORD_1
	v_fmac_f16_e32 v7, v3, v5
	v_fma_f16 v3, v5, v6, -v8
	v_cvt_f32_f16_e32 v5, v7
	v_cvt_f32_f16_e32 v3, v3
	v_cvt_f64_f32_e32 v[5:6], v5
	v_cvt_f64_f32_e32 v[7:8], v3
	v_mul_f64 v[5:6], v[5:6], s[4:5]
	v_mul_f64 v[7:8], v[7:8], s[4:5]
	v_and_or_b32 v3, 0x1ff, v6, v5
	v_and_or_b32 v7, 0x1ff, v8, v7
	v_lshrrev_b32_e32 v5, 8, v6
	v_bfe_u32 v9, v6, 20, 11
	v_lshrrev_b32_e32 v10, 8, v8
	v_cmp_ne_u32_e32 vcc_lo, 0, v3
	v_bfe_u32 v11, v8, 20, 11
	v_lshrrev_b32_e32 v6, 16, v6
	v_sub_nc_u32_e32 v12, 0x3f1, v9
	v_add_nc_u32_e32 v9, 0xfffffc10, v9
	v_cndmask_b32_e64 v3, 0, 1, vcc_lo
	v_cmp_ne_u32_e32 vcc_lo, 0, v7
	v_lshrrev_b32_e32 v8, 16, v8
	v_and_or_b32 v3, 0xffe, v5, v3
	v_cndmask_b32_e64 v7, 0, 1, vcc_lo
	v_sub_nc_u32_e32 v5, 0x3f1, v11
	v_add_nc_u32_e32 v11, 0xfffffc10, v11
	v_and_or_b32 v7, 0xffe, v10, v7
	v_med3_i32 v10, v12, 0, 13
	v_or_b32_e32 v12, 0x1000, v3
	v_med3_i32 v5, v5, 0, 13
	v_or_b32_e32 v13, 0x1000, v7
	v_lshrrev_b32_e32 v14, v10, v12
	v_lshrrev_b32_e32 v15, v5, v13
	v_lshlrev_b32_e32 v10, v10, v14
	v_lshlrev_b32_e32 v5, v5, v15
	v_cmp_ne_u32_e32 vcc_lo, v10, v12
	v_lshl_or_b32 v12, v9, 12, v3
	v_cndmask_b32_e64 v10, 0, 1, vcc_lo
	v_cmp_ne_u32_e32 vcc_lo, v5, v13
	v_lshl_or_b32 v13, v11, 12, v7
	v_or_b32_e32 v10, v14, v10
	v_cndmask_b32_e64 v5, 0, 1, vcc_lo
	v_cmp_gt_i32_e32 vcc_lo, 1, v9
	v_or_b32_e32 v5, v15, v5
	v_cndmask_b32_e32 v10, v12, v10, vcc_lo
	v_cmp_gt_i32_e32 vcc_lo, 1, v11
	v_and_b32_e32 v12, 7, v10
	v_cndmask_b32_e32 v5, v13, v5, vcc_lo
	v_cmp_ne_u32_e32 vcc_lo, 0, v3
	v_lshrrev_b32_e32 v10, 2, v10
	v_cmp_eq_u32_e64 s0, 3, v12
	v_and_b32_e32 v13, 7, v5
	v_cndmask_b32_e64 v3, 0, 1, vcc_lo
	v_cmp_ne_u32_e32 vcc_lo, 0, v7
	v_lshrrev_b32_e32 v5, 2, v5
	v_cmp_lt_i32_e64 s1, 5, v13
	v_cmp_eq_u32_e64 s2, 3, v13
	v_cndmask_b32_e64 v7, 0, 1, vcc_lo
	v_cmp_lt_i32_e32 vcc_lo, 5, v12
	v_lshl_or_b32 v3, v3, 9, 0x7c00
	v_lshl_or_b32 v7, v7, 9, 0x7c00
	s_or_b32 vcc_lo, s0, vcc_lo
	v_add_co_ci_u32_e32 v10, vcc_lo, 0, v10, vcc_lo
	s_or_b32 vcc_lo, s2, s1
	v_add_co_ci_u32_e32 v5, vcc_lo, 0, v5, vcc_lo
	v_cmp_gt_i32_e32 vcc_lo, 31, v9
	v_cndmask_b32_e32 v10, 0x7c00, v10, vcc_lo
	v_cmp_gt_i32_e32 vcc_lo, 31, v11
	v_cndmask_b32_e32 v5, 0x7c00, v5, vcc_lo
	v_cmp_eq_u32_e32 vcc_lo, 0x40f, v9
	v_cndmask_b32_e32 v3, v10, v3, vcc_lo
	v_cmp_eq_u32_e32 vcc_lo, 0x40f, v11
	v_and_or_b32 v3, 0x8000, v6, v3
	v_cndmask_b32_e32 v5, v5, v7, vcc_lo
	v_add_co_u32 v0, vcc_lo, v0, s6
	v_add_co_ci_u32_e32 v1, vcc_lo, s7, v1, vcc_lo
	v_and_or_b32 v5, 0x8000, v8, v5
	v_and_b32_e32 v3, 0xffff, v3
	v_lshl_or_b32 v3, v5, 16, v3
	v_lshrrev_b32_e32 v5, 16, v4
	global_store_dword v[0:1], v3, off
	global_load_dword v3, v[22:23], off offset:1720
	s_waitcnt vmcnt(0)
	v_mul_f16_sdwa v6, v5, v3 dst_sel:DWORD dst_unused:UNUSED_PAD src0_sel:DWORD src1_sel:WORD_1
	v_mul_f16_sdwa v7, v4, v3 dst_sel:DWORD dst_unused:UNUSED_PAD src0_sel:DWORD src1_sel:WORD_1
	v_fmac_f16_e32 v6, v4, v3
	v_fma_f16 v3, v3, v5, -v7
	v_cvt_f32_f16_e32 v4, v6
	v_cvt_f32_f16_e32 v5, v3
	v_cvt_f64_f32_e32 v[3:4], v4
	v_cvt_f64_f32_e32 v[5:6], v5
	v_mul_f64 v[3:4], v[3:4], s[4:5]
	v_mul_f64 v[5:6], v[5:6], s[4:5]
	v_and_or_b32 v3, 0x1ff, v4, v3
	v_and_or_b32 v5, 0x1ff, v6, v5
	v_lshrrev_b32_e32 v7, 8, v4
	v_bfe_u32 v8, v4, 20, 11
	v_lshrrev_b32_e32 v9, 8, v6
	v_cmp_ne_u32_e32 vcc_lo, 0, v3
	v_bfe_u32 v10, v6, 20, 11
	v_lshrrev_b32_e32 v4, 16, v4
	v_sub_nc_u32_e32 v11, 0x3f1, v8
	v_add_nc_u32_e32 v8, 0xfffffc10, v8
	v_cndmask_b32_e64 v3, 0, 1, vcc_lo
	v_cmp_ne_u32_e32 vcc_lo, 0, v5
	v_lshrrev_b32_e32 v6, 16, v6
	v_and_or_b32 v3, 0xffe, v7, v3
	v_cndmask_b32_e64 v5, 0, 1, vcc_lo
	v_sub_nc_u32_e32 v7, 0x3f1, v10
	v_add_nc_u32_e32 v10, 0xfffffc10, v10
	v_and_or_b32 v5, 0xffe, v9, v5
	v_med3_i32 v9, v11, 0, 13
	v_or_b32_e32 v11, 0x1000, v3
	v_med3_i32 v7, v7, 0, 13
	v_or_b32_e32 v12, 0x1000, v5
	v_lshrrev_b32_e32 v13, v9, v11
	v_lshrrev_b32_e32 v14, v7, v12
	v_lshlrev_b32_e32 v9, v9, v13
	v_lshlrev_b32_e32 v7, v7, v14
	v_cmp_ne_u32_e32 vcc_lo, v9, v11
	v_lshl_or_b32 v11, v8, 12, v3
	v_cndmask_b32_e64 v9, 0, 1, vcc_lo
	v_cmp_ne_u32_e32 vcc_lo, v7, v12
	v_lshl_or_b32 v12, v10, 12, v5
	v_or_b32_e32 v9, v13, v9
	v_cndmask_b32_e64 v7, 0, 1, vcc_lo
	v_cmp_gt_i32_e32 vcc_lo, 1, v8
	v_or_b32_e32 v7, v14, v7
	v_cndmask_b32_e32 v9, v11, v9, vcc_lo
	v_cmp_gt_i32_e32 vcc_lo, 1, v10
	v_and_b32_e32 v11, 7, v9
	v_cndmask_b32_e32 v7, v12, v7, vcc_lo
	v_cmp_ne_u32_e32 vcc_lo, 0, v3
	v_lshrrev_b32_e32 v9, 2, v9
	v_cmp_eq_u32_e64 s0, 3, v11
	v_and_b32_e32 v12, 7, v7
	v_cndmask_b32_e64 v3, 0, 1, vcc_lo
	v_cmp_ne_u32_e32 vcc_lo, 0, v5
	v_lshrrev_b32_e32 v7, 2, v7
	v_cmp_lt_i32_e64 s1, 5, v12
	v_cmp_eq_u32_e64 s2, 3, v12
	v_cndmask_b32_e64 v5, 0, 1, vcc_lo
	v_cmp_lt_i32_e32 vcc_lo, 5, v11
	v_lshl_or_b32 v3, v3, 9, 0x7c00
	v_lshl_or_b32 v5, v5, 9, 0x7c00
	s_or_b32 vcc_lo, s0, vcc_lo
	v_add_co_ci_u32_e32 v9, vcc_lo, 0, v9, vcc_lo
	s_or_b32 vcc_lo, s2, s1
	v_add_co_ci_u32_e32 v7, vcc_lo, 0, v7, vcc_lo
	v_cmp_gt_i32_e32 vcc_lo, 31, v8
	v_cndmask_b32_e32 v9, 0x7c00, v9, vcc_lo
	v_cmp_gt_i32_e32 vcc_lo, 31, v10
	v_cndmask_b32_e32 v7, 0x7c00, v7, vcc_lo
	v_cmp_eq_u32_e32 vcc_lo, 0x40f, v8
	v_cndmask_b32_e32 v3, v9, v3, vcc_lo
	v_cmp_eq_u32_e32 vcc_lo, 0x40f, v10
	v_and_or_b32 v3, 0x8000, v4, v3
	v_cndmask_b32_e32 v5, v7, v5, vcc_lo
	v_add_co_u32 v0, vcc_lo, v0, s6
	v_add_co_ci_u32_e32 v1, vcc_lo, s7, v1, vcc_lo
	v_and_or_b32 v4, 0x8000, v6, v5
	v_and_b32_e32 v3, 0xffff, v3
	v_lshl_or_b32 v3, v4, 16, v3
	global_store_dword v[0:1], v3, off
	global_load_dword v4, v[22:23], off offset:2020
	ds_read2_b32 v[2:3], v2 offset0:121 offset1:196
	s_waitcnt lgkmcnt(0)
	v_lshrrev_b32_e32 v5, 16, v2
	s_waitcnt vmcnt(0)
	v_mul_f16_sdwa v6, v5, v4 dst_sel:DWORD dst_unused:UNUSED_PAD src0_sel:DWORD src1_sel:WORD_1
	v_mul_f16_sdwa v7, v2, v4 dst_sel:DWORD dst_unused:UNUSED_PAD src0_sel:DWORD src1_sel:WORD_1
	v_fmac_f16_e32 v6, v2, v4
	v_fma_f16 v2, v4, v5, -v7
	v_cvt_f32_f16_e32 v4, v6
	v_cvt_f32_f16_e32 v2, v2
	v_cvt_f64_f32_e32 v[4:5], v4
	v_cvt_f64_f32_e32 v[6:7], v2
	v_mul_f64 v[4:5], v[4:5], s[4:5]
	v_mul_f64 v[6:7], v[6:7], s[4:5]
	v_and_or_b32 v2, 0x1ff, v5, v4
	v_and_or_b32 v6, 0x1ff, v7, v6
	v_lshrrev_b32_e32 v4, 8, v5
	v_bfe_u32 v8, v5, 20, 11
	v_lshrrev_b32_e32 v9, 8, v7
	v_cmp_ne_u32_e32 vcc_lo, 0, v2
	v_bfe_u32 v10, v7, 20, 11
	v_lshrrev_b32_e32 v5, 16, v5
	v_sub_nc_u32_e32 v11, 0x3f1, v8
	v_add_nc_u32_e32 v8, 0xfffffc10, v8
	v_cndmask_b32_e64 v2, 0, 1, vcc_lo
	v_cmp_ne_u32_e32 vcc_lo, 0, v6
	v_lshrrev_b32_e32 v7, 16, v7
	v_and_or_b32 v2, 0xffe, v4, v2
	v_cndmask_b32_e64 v6, 0, 1, vcc_lo
	v_sub_nc_u32_e32 v4, 0x3f1, v10
	v_add_nc_u32_e32 v10, 0xfffffc10, v10
	v_and_or_b32 v6, 0xffe, v9, v6
	v_med3_i32 v9, v11, 0, 13
	v_or_b32_e32 v11, 0x1000, v2
	v_med3_i32 v4, v4, 0, 13
	v_or_b32_e32 v12, 0x1000, v6
	v_lshrrev_b32_e32 v13, v9, v11
	v_lshrrev_b32_e32 v14, v4, v12
	v_lshlrev_b32_e32 v9, v9, v13
	v_lshlrev_b32_e32 v4, v4, v14
	v_cmp_ne_u32_e32 vcc_lo, v9, v11
	v_lshl_or_b32 v11, v8, 12, v2
	v_cndmask_b32_e64 v9, 0, 1, vcc_lo
	v_cmp_ne_u32_e32 vcc_lo, v4, v12
	v_lshl_or_b32 v12, v10, 12, v6
	v_or_b32_e32 v9, v13, v9
	v_cndmask_b32_e64 v4, 0, 1, vcc_lo
	v_cmp_gt_i32_e32 vcc_lo, 1, v8
	v_or_b32_e32 v4, v14, v4
	v_cndmask_b32_e32 v9, v11, v9, vcc_lo
	v_cmp_gt_i32_e32 vcc_lo, 1, v10
	v_and_b32_e32 v11, 7, v9
	v_cndmask_b32_e32 v4, v12, v4, vcc_lo
	v_cmp_ne_u32_e32 vcc_lo, 0, v2
	v_lshrrev_b32_e32 v9, 2, v9
	v_cmp_eq_u32_e64 s0, 3, v11
	v_and_b32_e32 v12, 7, v4
	v_cndmask_b32_e64 v2, 0, 1, vcc_lo
	v_cmp_ne_u32_e32 vcc_lo, 0, v6
	v_lshrrev_b32_e32 v4, 2, v4
	v_cmp_lt_i32_e64 s1, 5, v12
	v_cmp_eq_u32_e64 s2, 3, v12
	v_cndmask_b32_e64 v6, 0, 1, vcc_lo
	v_cmp_lt_i32_e32 vcc_lo, 5, v11
	v_lshl_or_b32 v2, v2, 9, 0x7c00
	v_lshl_or_b32 v6, v6, 9, 0x7c00
	s_or_b32 vcc_lo, s0, vcc_lo
	v_add_co_ci_u32_e32 v9, vcc_lo, 0, v9, vcc_lo
	s_or_b32 vcc_lo, s2, s1
	v_add_co_ci_u32_e32 v4, vcc_lo, 0, v4, vcc_lo
	v_cmp_gt_i32_e32 vcc_lo, 31, v8
	v_cndmask_b32_e32 v9, 0x7c00, v9, vcc_lo
	v_cmp_gt_i32_e32 vcc_lo, 31, v10
	v_cndmask_b32_e32 v4, 0x7c00, v4, vcc_lo
	v_cmp_eq_u32_e32 vcc_lo, 0x40f, v8
	v_cndmask_b32_e32 v2, v9, v2, vcc_lo
	v_cmp_eq_u32_e32 vcc_lo, 0x40f, v10
	v_and_or_b32 v2, 0x8000, v5, v2
	v_cndmask_b32_e32 v4, v4, v6, vcc_lo
	v_add_co_u32 v0, vcc_lo, v0, s6
	v_add_co_ci_u32_e32 v1, vcc_lo, s7, v1, vcc_lo
	v_and_or_b32 v4, 0x8000, v7, v4
	v_and_b32_e32 v2, 0xffff, v2
	v_lshl_or_b32 v2, v4, 16, v2
	v_lshrrev_b32_e32 v4, 16, v3
	global_store_dword v[0:1], v2, off
	global_load_dword v2, v[20:21], off offset:272
	s_waitcnt vmcnt(0)
	v_mul_f16_sdwa v5, v4, v2 dst_sel:DWORD dst_unused:UNUSED_PAD src0_sel:DWORD src1_sel:WORD_1
	v_mul_f16_sdwa v6, v3, v2 dst_sel:DWORD dst_unused:UNUSED_PAD src0_sel:DWORD src1_sel:WORD_1
	v_fmac_f16_e32 v5, v3, v2
	v_fma_f16 v2, v2, v4, -v6
	v_cvt_f32_f16_e32 v3, v5
	v_cvt_f32_f16_e32 v4, v2
	v_cvt_f64_f32_e32 v[2:3], v3
	v_cvt_f64_f32_e32 v[4:5], v4
	v_mul_f64 v[2:3], v[2:3], s[4:5]
	v_mul_f64 v[4:5], v[4:5], s[4:5]
	v_and_or_b32 v2, 0x1ff, v3, v2
	v_and_or_b32 v4, 0x1ff, v5, v4
	v_lshrrev_b32_e32 v6, 8, v3
	v_bfe_u32 v7, v3, 20, 11
	v_lshrrev_b32_e32 v8, 8, v5
	v_cmp_ne_u32_e32 vcc_lo, 0, v2
	v_bfe_u32 v9, v5, 20, 11
	v_lshrrev_b32_e32 v3, 16, v3
	v_sub_nc_u32_e32 v10, 0x3f1, v7
	v_add_nc_u32_e32 v7, 0xfffffc10, v7
	v_cndmask_b32_e64 v2, 0, 1, vcc_lo
	v_cmp_ne_u32_e32 vcc_lo, 0, v4
	v_lshrrev_b32_e32 v5, 16, v5
	v_and_or_b32 v2, 0xffe, v6, v2
	v_cndmask_b32_e64 v4, 0, 1, vcc_lo
	v_sub_nc_u32_e32 v6, 0x3f1, v9
	v_add_nc_u32_e32 v9, 0xfffffc10, v9
	v_and_or_b32 v4, 0xffe, v8, v4
	v_med3_i32 v8, v10, 0, 13
	v_or_b32_e32 v10, 0x1000, v2
	v_med3_i32 v6, v6, 0, 13
	v_or_b32_e32 v11, 0x1000, v4
	v_lshrrev_b32_e32 v12, v8, v10
	v_lshrrev_b32_e32 v13, v6, v11
	v_lshlrev_b32_e32 v8, v8, v12
	v_lshlrev_b32_e32 v6, v6, v13
	v_cmp_ne_u32_e32 vcc_lo, v8, v10
	v_lshl_or_b32 v10, v7, 12, v2
	v_cndmask_b32_e64 v8, 0, 1, vcc_lo
	v_cmp_ne_u32_e32 vcc_lo, v6, v11
	v_lshl_or_b32 v11, v9, 12, v4
	v_or_b32_e32 v8, v12, v8
	v_cndmask_b32_e64 v6, 0, 1, vcc_lo
	v_cmp_gt_i32_e32 vcc_lo, 1, v7
	v_or_b32_e32 v6, v13, v6
	v_cndmask_b32_e32 v8, v10, v8, vcc_lo
	v_cmp_gt_i32_e32 vcc_lo, 1, v9
	v_and_b32_e32 v10, 7, v8
	v_cndmask_b32_e32 v6, v11, v6, vcc_lo
	v_cmp_ne_u32_e32 vcc_lo, 0, v2
	v_lshrrev_b32_e32 v8, 2, v8
	v_cmp_eq_u32_e64 s0, 3, v10
	v_and_b32_e32 v11, 7, v6
	v_cndmask_b32_e64 v2, 0, 1, vcc_lo
	v_cmp_ne_u32_e32 vcc_lo, 0, v4
	v_lshrrev_b32_e32 v6, 2, v6
	v_cmp_lt_i32_e64 s1, 5, v11
	v_cmp_eq_u32_e64 s2, 3, v11
	v_cndmask_b32_e64 v4, 0, 1, vcc_lo
	v_cmp_lt_i32_e32 vcc_lo, 5, v10
	v_lshl_or_b32 v2, v2, 9, 0x7c00
	v_lshl_or_b32 v4, v4, 9, 0x7c00
	s_or_b32 vcc_lo, s0, vcc_lo
	v_add_co_ci_u32_e32 v8, vcc_lo, 0, v8, vcc_lo
	s_or_b32 vcc_lo, s2, s1
	v_add_co_ci_u32_e32 v6, vcc_lo, 0, v6, vcc_lo
	v_cmp_gt_i32_e32 vcc_lo, 31, v7
	v_cndmask_b32_e32 v8, 0x7c00, v8, vcc_lo
	v_cmp_gt_i32_e32 vcc_lo, 31, v9
	v_cndmask_b32_e32 v6, 0x7c00, v6, vcc_lo
	v_cmp_eq_u32_e32 vcc_lo, 0x40f, v7
	v_cndmask_b32_e32 v2, v8, v2, vcc_lo
	v_cmp_eq_u32_e32 vcc_lo, 0x40f, v9
	v_and_or_b32 v2, 0x8000, v3, v2
	v_cndmask_b32_e32 v4, v6, v4, vcc_lo
	v_add_co_u32 v0, vcc_lo, v0, s6
	v_add_co_ci_u32_e32 v1, vcc_lo, s7, v1, vcc_lo
	v_and_or_b32 v3, 0x8000, v5, v4
	v_and_b32_e32 v2, 0xffff, v2
	v_lshl_or_b32 v2, v3, 16, v2
	global_store_dword v[0:1], v2, off
	global_load_dword v4, v[20:21], off offset:572
	ds_read2_b32 v[2:3], v25 offset0:143 offset1:218
	s_waitcnt lgkmcnt(0)
	v_lshrrev_b32_e32 v5, 16, v2
	s_waitcnt vmcnt(0)
	v_mul_f16_sdwa v6, v5, v4 dst_sel:DWORD dst_unused:UNUSED_PAD src0_sel:DWORD src1_sel:WORD_1
	v_mul_f16_sdwa v7, v2, v4 dst_sel:DWORD dst_unused:UNUSED_PAD src0_sel:DWORD src1_sel:WORD_1
	v_fmac_f16_e32 v6, v2, v4
	v_fma_f16 v2, v4, v5, -v7
	v_cvt_f32_f16_e32 v4, v6
	v_cvt_f32_f16_e32 v2, v2
	v_cvt_f64_f32_e32 v[4:5], v4
	v_cvt_f64_f32_e32 v[6:7], v2
	v_mul_f64 v[4:5], v[4:5], s[4:5]
	v_mul_f64 v[6:7], v[6:7], s[4:5]
	v_and_or_b32 v2, 0x1ff, v5, v4
	v_and_or_b32 v6, 0x1ff, v7, v6
	v_lshrrev_b32_e32 v4, 8, v5
	v_bfe_u32 v8, v5, 20, 11
	v_lshrrev_b32_e32 v9, 8, v7
	v_cmp_ne_u32_e32 vcc_lo, 0, v2
	v_bfe_u32 v10, v7, 20, 11
	v_lshrrev_b32_e32 v5, 16, v5
	v_sub_nc_u32_e32 v11, 0x3f1, v8
	v_add_nc_u32_e32 v8, 0xfffffc10, v8
	v_cndmask_b32_e64 v2, 0, 1, vcc_lo
	v_cmp_ne_u32_e32 vcc_lo, 0, v6
	v_lshrrev_b32_e32 v7, 16, v7
	v_and_or_b32 v2, 0xffe, v4, v2
	v_cndmask_b32_e64 v6, 0, 1, vcc_lo
	v_sub_nc_u32_e32 v4, 0x3f1, v10
	v_add_nc_u32_e32 v10, 0xfffffc10, v10
	v_and_or_b32 v6, 0xffe, v9, v6
	v_med3_i32 v9, v11, 0, 13
	v_or_b32_e32 v11, 0x1000, v2
	v_med3_i32 v4, v4, 0, 13
	v_or_b32_e32 v12, 0x1000, v6
	v_lshrrev_b32_e32 v13, v9, v11
	v_lshrrev_b32_e32 v14, v4, v12
	v_lshlrev_b32_e32 v9, v9, v13
	v_lshlrev_b32_e32 v4, v4, v14
	v_cmp_ne_u32_e32 vcc_lo, v9, v11
	v_lshl_or_b32 v11, v8, 12, v2
	v_cndmask_b32_e64 v9, 0, 1, vcc_lo
	v_cmp_ne_u32_e32 vcc_lo, v4, v12
	v_lshl_or_b32 v12, v10, 12, v6
	v_or_b32_e32 v9, v13, v9
	v_cndmask_b32_e64 v4, 0, 1, vcc_lo
	v_cmp_gt_i32_e32 vcc_lo, 1, v8
	v_or_b32_e32 v4, v14, v4
	v_cndmask_b32_e32 v9, v11, v9, vcc_lo
	v_cmp_gt_i32_e32 vcc_lo, 1, v10
	v_and_b32_e32 v11, 7, v9
	v_cndmask_b32_e32 v4, v12, v4, vcc_lo
	v_cmp_ne_u32_e32 vcc_lo, 0, v2
	v_lshrrev_b32_e32 v9, 2, v9
	v_cmp_eq_u32_e64 s0, 3, v11
	v_and_b32_e32 v12, 7, v4
	v_cndmask_b32_e64 v2, 0, 1, vcc_lo
	v_cmp_ne_u32_e32 vcc_lo, 0, v6
	v_lshrrev_b32_e32 v4, 2, v4
	v_cmp_lt_i32_e64 s1, 5, v12
	v_cmp_eq_u32_e64 s2, 3, v12
	v_cndmask_b32_e64 v6, 0, 1, vcc_lo
	v_cmp_lt_i32_e32 vcc_lo, 5, v11
	v_lshl_or_b32 v2, v2, 9, 0x7c00
	v_lshl_or_b32 v6, v6, 9, 0x7c00
	s_or_b32 vcc_lo, s0, vcc_lo
	v_add_co_ci_u32_e32 v9, vcc_lo, 0, v9, vcc_lo
	s_or_b32 vcc_lo, s2, s1
	v_add_co_ci_u32_e32 v4, vcc_lo, 0, v4, vcc_lo
	v_cmp_gt_i32_e32 vcc_lo, 31, v8
	v_cndmask_b32_e32 v9, 0x7c00, v9, vcc_lo
	v_cmp_gt_i32_e32 vcc_lo, 31, v10
	v_cndmask_b32_e32 v4, 0x7c00, v4, vcc_lo
	v_cmp_eq_u32_e32 vcc_lo, 0x40f, v8
	v_cndmask_b32_e32 v2, v9, v2, vcc_lo
	v_cmp_eq_u32_e32 vcc_lo, 0x40f, v10
	v_and_or_b32 v2, 0x8000, v5, v2
	v_cndmask_b32_e32 v4, v4, v6, vcc_lo
	v_add_co_u32 v0, vcc_lo, v0, s6
	v_add_co_ci_u32_e32 v1, vcc_lo, s7, v1, vcc_lo
	v_and_or_b32 v4, 0x8000, v7, v4
	v_and_b32_e32 v2, 0xffff, v2
	v_lshl_or_b32 v2, v4, 16, v2
	v_lshrrev_b32_e32 v4, 16, v3
	global_store_dword v[0:1], v2, off
	global_load_dword v2, v[20:21], off offset:872
	s_waitcnt vmcnt(0)
	v_mul_f16_sdwa v5, v4, v2 dst_sel:DWORD dst_unused:UNUSED_PAD src0_sel:DWORD src1_sel:WORD_1
	v_mul_f16_sdwa v6, v3, v2 dst_sel:DWORD dst_unused:UNUSED_PAD src0_sel:DWORD src1_sel:WORD_1
	v_fmac_f16_e32 v5, v3, v2
	v_fma_f16 v2, v2, v4, -v6
	v_cvt_f32_f16_e32 v3, v5
	v_cvt_f32_f16_e32 v4, v2
	v_cvt_f64_f32_e32 v[2:3], v3
	v_cvt_f64_f32_e32 v[4:5], v4
	v_mul_f64 v[2:3], v[2:3], s[4:5]
	v_mul_f64 v[4:5], v[4:5], s[4:5]
	v_and_or_b32 v2, 0x1ff, v3, v2
	v_and_or_b32 v4, 0x1ff, v5, v4
	v_lshrrev_b32_e32 v6, 8, v3
	v_bfe_u32 v7, v3, 20, 11
	v_lshrrev_b32_e32 v8, 8, v5
	v_cmp_ne_u32_e32 vcc_lo, 0, v2
	v_bfe_u32 v9, v5, 20, 11
	v_lshrrev_b32_e32 v3, 16, v3
	v_sub_nc_u32_e32 v10, 0x3f1, v7
	v_add_nc_u32_e32 v7, 0xfffffc10, v7
	v_cndmask_b32_e64 v2, 0, 1, vcc_lo
	v_cmp_ne_u32_e32 vcc_lo, 0, v4
	v_lshrrev_b32_e32 v5, 16, v5
	v_and_or_b32 v2, 0xffe, v6, v2
	v_cndmask_b32_e64 v4, 0, 1, vcc_lo
	v_sub_nc_u32_e32 v6, 0x3f1, v9
	v_add_nc_u32_e32 v9, 0xfffffc10, v9
	v_and_or_b32 v4, 0xffe, v8, v4
	v_med3_i32 v8, v10, 0, 13
	v_or_b32_e32 v10, 0x1000, v2
	v_med3_i32 v6, v6, 0, 13
	v_or_b32_e32 v11, 0x1000, v4
	v_lshrrev_b32_e32 v12, v8, v10
	v_lshrrev_b32_e32 v13, v6, v11
	v_lshlrev_b32_e32 v8, v8, v12
	v_lshlrev_b32_e32 v6, v6, v13
	v_cmp_ne_u32_e32 vcc_lo, v8, v10
	v_lshl_or_b32 v10, v7, 12, v2
	v_cndmask_b32_e64 v8, 0, 1, vcc_lo
	v_cmp_ne_u32_e32 vcc_lo, v6, v11
	v_lshl_or_b32 v11, v9, 12, v4
	v_or_b32_e32 v8, v12, v8
	v_cndmask_b32_e64 v6, 0, 1, vcc_lo
	v_cmp_gt_i32_e32 vcc_lo, 1, v7
	v_or_b32_e32 v6, v13, v6
	v_cndmask_b32_e32 v8, v10, v8, vcc_lo
	v_cmp_gt_i32_e32 vcc_lo, 1, v9
	v_and_b32_e32 v10, 7, v8
	v_cndmask_b32_e32 v6, v11, v6, vcc_lo
	v_cmp_ne_u32_e32 vcc_lo, 0, v2
	v_lshrrev_b32_e32 v8, 2, v8
	v_cmp_eq_u32_e64 s0, 3, v10
	v_and_b32_e32 v11, 7, v6
	v_cndmask_b32_e64 v2, 0, 1, vcc_lo
	v_cmp_ne_u32_e32 vcc_lo, 0, v4
	v_lshrrev_b32_e32 v6, 2, v6
	v_cmp_lt_i32_e64 s1, 5, v11
	v_cmp_eq_u32_e64 s2, 3, v11
	v_cndmask_b32_e64 v4, 0, 1, vcc_lo
	v_cmp_lt_i32_e32 vcc_lo, 5, v10
	v_lshl_or_b32 v2, v2, 9, 0x7c00
	v_lshl_or_b32 v4, v4, 9, 0x7c00
	s_or_b32 vcc_lo, s0, vcc_lo
	v_add_co_ci_u32_e32 v8, vcc_lo, 0, v8, vcc_lo
	s_or_b32 vcc_lo, s2, s1
	v_add_co_ci_u32_e32 v6, vcc_lo, 0, v6, vcc_lo
	v_cmp_gt_i32_e32 vcc_lo, 31, v7
	v_cndmask_b32_e32 v8, 0x7c00, v8, vcc_lo
	v_cmp_gt_i32_e32 vcc_lo, 31, v9
	v_cndmask_b32_e32 v6, 0x7c00, v6, vcc_lo
	v_cmp_eq_u32_e32 vcc_lo, 0x40f, v7
	v_cndmask_b32_e32 v2, v8, v2, vcc_lo
	v_cmp_eq_u32_e32 vcc_lo, 0x40f, v9
	v_and_or_b32 v2, 0x8000, v3, v2
	v_cndmask_b32_e32 v4, v6, v4, vcc_lo
	v_add_co_u32 v0, vcc_lo, v0, s6
	v_add_co_ci_u32_e32 v1, vcc_lo, s7, v1, vcc_lo
	v_and_or_b32 v3, 0x8000, v5, v4
	v_and_b32_e32 v2, 0xffff, v2
	v_lshl_or_b32 v2, v3, 16, v2
	ds_read_b32 v3, v56 offset:3220
	global_store_dword v[0:1], v2, off
	global_load_dword v2, v[20:21], off offset:1172
	s_waitcnt lgkmcnt(0)
	v_lshrrev_b32_e32 v4, 16, v3
	s_waitcnt vmcnt(0)
	v_mul_f16_sdwa v5, v4, v2 dst_sel:DWORD dst_unused:UNUSED_PAD src0_sel:DWORD src1_sel:WORD_1
	v_mul_f16_sdwa v6, v3, v2 dst_sel:DWORD dst_unused:UNUSED_PAD src0_sel:DWORD src1_sel:WORD_1
	v_fmac_f16_e32 v5, v3, v2
	v_fma_f16 v2, v2, v4, -v6
	v_cvt_f32_f16_e32 v3, v5
	v_cvt_f32_f16_e32 v4, v2
	v_cvt_f64_f32_e32 v[2:3], v3
	v_cvt_f64_f32_e32 v[4:5], v4
	v_mul_f64 v[2:3], v[2:3], s[4:5]
	v_mul_f64 v[4:5], v[4:5], s[4:5]
	v_and_or_b32 v2, 0x1ff, v3, v2
	v_and_or_b32 v4, 0x1ff, v5, v4
	v_lshrrev_b32_e32 v6, 8, v3
	v_bfe_u32 v7, v3, 20, 11
	v_lshrrev_b32_e32 v8, 8, v5
	v_cmp_ne_u32_e32 vcc_lo, 0, v2
	v_bfe_u32 v9, v5, 20, 11
	v_lshrrev_b32_e32 v3, 16, v3
	v_sub_nc_u32_e32 v10, 0x3f1, v7
	v_add_nc_u32_e32 v7, 0xfffffc10, v7
	v_cndmask_b32_e64 v2, 0, 1, vcc_lo
	v_cmp_ne_u32_e32 vcc_lo, 0, v4
	v_lshrrev_b32_e32 v5, 16, v5
	v_and_or_b32 v2, 0xffe, v6, v2
	v_cndmask_b32_e64 v4, 0, 1, vcc_lo
	v_sub_nc_u32_e32 v6, 0x3f1, v9
	v_add_nc_u32_e32 v9, 0xfffffc10, v9
	v_and_or_b32 v4, 0xffe, v8, v4
	v_med3_i32 v8, v10, 0, 13
	v_or_b32_e32 v10, 0x1000, v2
	v_med3_i32 v6, v6, 0, 13
	v_or_b32_e32 v11, 0x1000, v4
	v_lshrrev_b32_e32 v12, v8, v10
	v_lshrrev_b32_e32 v13, v6, v11
	v_lshlrev_b32_e32 v8, v8, v12
	v_lshlrev_b32_e32 v6, v6, v13
	v_cmp_ne_u32_e32 vcc_lo, v8, v10
	v_lshl_or_b32 v10, v7, 12, v2
	v_cndmask_b32_e64 v8, 0, 1, vcc_lo
	v_cmp_ne_u32_e32 vcc_lo, v6, v11
	v_lshl_or_b32 v11, v9, 12, v4
	v_or_b32_e32 v8, v12, v8
	v_cndmask_b32_e64 v6, 0, 1, vcc_lo
	v_cmp_gt_i32_e32 vcc_lo, 1, v7
	v_or_b32_e32 v6, v13, v6
	v_cndmask_b32_e32 v8, v10, v8, vcc_lo
	v_cmp_gt_i32_e32 vcc_lo, 1, v9
	v_and_b32_e32 v10, 7, v8
	v_cndmask_b32_e32 v6, v11, v6, vcc_lo
	v_cmp_ne_u32_e32 vcc_lo, 0, v2
	v_lshrrev_b32_e32 v8, 2, v8
	v_cmp_eq_u32_e64 s0, 3, v10
	v_and_b32_e32 v11, 7, v6
	v_cndmask_b32_e64 v2, 0, 1, vcc_lo
	v_cmp_ne_u32_e32 vcc_lo, 0, v4
	v_lshrrev_b32_e32 v6, 2, v6
	v_cmp_lt_i32_e64 s1, 5, v11
	v_cmp_eq_u32_e64 s2, 3, v11
	v_cndmask_b32_e64 v4, 0, 1, vcc_lo
	v_cmp_lt_i32_e32 vcc_lo, 5, v10
	v_lshl_or_b32 v2, v2, 9, 0x7c00
	v_lshl_or_b32 v4, v4, 9, 0x7c00
	s_or_b32 vcc_lo, s0, vcc_lo
	v_add_co_ci_u32_e32 v8, vcc_lo, 0, v8, vcc_lo
	s_or_b32 vcc_lo, s2, s1
	v_add_co_ci_u32_e32 v6, vcc_lo, 0, v6, vcc_lo
	v_cmp_gt_i32_e32 vcc_lo, 31, v7
	v_cndmask_b32_e32 v8, 0x7c00, v8, vcc_lo
	v_cmp_gt_i32_e32 vcc_lo, 31, v9
	v_cndmask_b32_e32 v6, 0x7c00, v6, vcc_lo
	v_cmp_eq_u32_e32 vcc_lo, 0x40f, v7
	v_cndmask_b32_e32 v2, v8, v2, vcc_lo
	v_cmp_eq_u32_e32 vcc_lo, 0x40f, v9
	v_and_or_b32 v2, 0x8000, v3, v2
	v_cndmask_b32_e32 v4, v6, v4, vcc_lo
	v_add_co_u32 v0, vcc_lo, v0, s6
	v_add_co_ci_u32_e32 v1, vcc_lo, s7, v1, vcc_lo
	v_and_or_b32 v3, 0x8000, v5, v4
	v_and_b32_e32 v2, 0xffff, v2
	v_lshl_or_b32 v2, v3, 16, v2
	global_store_dword v[0:1], v2, off
.LBB0_15:
	s_endpgm
	.section	.rodata,"a",@progbits
	.p2align	6, 0x0
	.amdhsa_kernel bluestein_single_fwd_len825_dim1_half_op_CI_CI
		.amdhsa_group_segment_fixed_size 3300
		.amdhsa_private_segment_fixed_size 0
		.amdhsa_kernarg_size 104
		.amdhsa_user_sgpr_count 6
		.amdhsa_user_sgpr_private_segment_buffer 1
		.amdhsa_user_sgpr_dispatch_ptr 0
		.amdhsa_user_sgpr_queue_ptr 0
		.amdhsa_user_sgpr_kernarg_segment_ptr 1
		.amdhsa_user_sgpr_dispatch_id 0
		.amdhsa_user_sgpr_flat_scratch_init 0
		.amdhsa_user_sgpr_private_segment_size 0
		.amdhsa_wavefront_size32 1
		.amdhsa_uses_dynamic_stack 0
		.amdhsa_system_sgpr_private_segment_wavefront_offset 0
		.amdhsa_system_sgpr_workgroup_id_x 1
		.amdhsa_system_sgpr_workgroup_id_y 0
		.amdhsa_system_sgpr_workgroup_id_z 0
		.amdhsa_system_sgpr_workgroup_info 0
		.amdhsa_system_vgpr_workitem_id 0
		.amdhsa_next_free_vgpr 147
		.amdhsa_next_free_sgpr 16
		.amdhsa_reserve_vcc 1
		.amdhsa_reserve_flat_scratch 0
		.amdhsa_float_round_mode_32 0
		.amdhsa_float_round_mode_16_64 0
		.amdhsa_float_denorm_mode_32 3
		.amdhsa_float_denorm_mode_16_64 3
		.amdhsa_dx10_clamp 1
		.amdhsa_ieee_mode 1
		.amdhsa_fp16_overflow 0
		.amdhsa_workgroup_processor_mode 1
		.amdhsa_memory_ordered 1
		.amdhsa_forward_progress 0
		.amdhsa_shared_vgpr_count 0
		.amdhsa_exception_fp_ieee_invalid_op 0
		.amdhsa_exception_fp_denorm_src 0
		.amdhsa_exception_fp_ieee_div_zero 0
		.amdhsa_exception_fp_ieee_overflow 0
		.amdhsa_exception_fp_ieee_underflow 0
		.amdhsa_exception_fp_ieee_inexact 0
		.amdhsa_exception_int_div_zero 0
	.end_amdhsa_kernel
	.text
.Lfunc_end0:
	.size	bluestein_single_fwd_len825_dim1_half_op_CI_CI, .Lfunc_end0-bluestein_single_fwd_len825_dim1_half_op_CI_CI
                                        ; -- End function
	.section	.AMDGPU.csdata,"",@progbits
; Kernel info:
; codeLenInByte = 35392
; NumSgprs: 18
; NumVgprs: 147
; ScratchSize: 0
; MemoryBound: 0
; FloatMode: 240
; IeeeMode: 1
; LDSByteSize: 3300 bytes/workgroup (compile time only)
; SGPRBlocks: 2
; VGPRBlocks: 18
; NumSGPRsForWavesPerEU: 18
; NumVGPRsForWavesPerEU: 147
; Occupancy: 6
; WaveLimiterHint : 1
; COMPUTE_PGM_RSRC2:SCRATCH_EN: 0
; COMPUTE_PGM_RSRC2:USER_SGPR: 6
; COMPUTE_PGM_RSRC2:TRAP_HANDLER: 0
; COMPUTE_PGM_RSRC2:TGID_X_EN: 1
; COMPUTE_PGM_RSRC2:TGID_Y_EN: 0
; COMPUTE_PGM_RSRC2:TGID_Z_EN: 0
; COMPUTE_PGM_RSRC2:TIDIG_COMP_CNT: 0
	.text
	.p2alignl 6, 3214868480
	.fill 48, 4, 3214868480
	.type	__hip_cuid_bac18e81229863db,@object ; @__hip_cuid_bac18e81229863db
	.section	.bss,"aw",@nobits
	.globl	__hip_cuid_bac18e81229863db
__hip_cuid_bac18e81229863db:
	.byte	0                               ; 0x0
	.size	__hip_cuid_bac18e81229863db, 1

	.ident	"AMD clang version 19.0.0git (https://github.com/RadeonOpenCompute/llvm-project roc-6.4.0 25133 c7fe45cf4b819c5991fe208aaa96edf142730f1d)"
	.section	".note.GNU-stack","",@progbits
	.addrsig
	.addrsig_sym __hip_cuid_bac18e81229863db
	.amdgpu_metadata
---
amdhsa.kernels:
  - .args:
      - .actual_access:  read_only
        .address_space:  global
        .offset:         0
        .size:           8
        .value_kind:     global_buffer
      - .actual_access:  read_only
        .address_space:  global
        .offset:         8
        .size:           8
        .value_kind:     global_buffer
      - .actual_access:  read_only
        .address_space:  global
        .offset:         16
        .size:           8
        .value_kind:     global_buffer
      - .actual_access:  read_only
        .address_space:  global
        .offset:         24
        .size:           8
        .value_kind:     global_buffer
      - .actual_access:  read_only
        .address_space:  global
        .offset:         32
        .size:           8
        .value_kind:     global_buffer
      - .offset:         40
        .size:           8
        .value_kind:     by_value
      - .address_space:  global
        .offset:         48
        .size:           8
        .value_kind:     global_buffer
      - .address_space:  global
        .offset:         56
        .size:           8
        .value_kind:     global_buffer
      - .address_space:  global
        .offset:         64
        .size:           8
        .value_kind:     global_buffer
      - .address_space:  global
        .offset:         72
        .size:           8
        .value_kind:     global_buffer
      - .offset:         80
        .size:           4
        .value_kind:     by_value
      - .address_space:  global
        .offset:         88
        .size:           8
        .value_kind:     global_buffer
      - .address_space:  global
        .offset:         96
        .size:           8
        .value_kind:     global_buffer
    .group_segment_fixed_size: 3300
    .kernarg_segment_align: 8
    .kernarg_segment_size: 104
    .language:       OpenCL C
    .language_version:
      - 2
      - 0
    .max_flat_workgroup_size: 55
    .name:           bluestein_single_fwd_len825_dim1_half_op_CI_CI
    .private_segment_fixed_size: 0
    .sgpr_count:     18
    .sgpr_spill_count: 0
    .symbol:         bluestein_single_fwd_len825_dim1_half_op_CI_CI.kd
    .uniform_work_group_size: 1
    .uses_dynamic_stack: false
    .vgpr_count:     147
    .vgpr_spill_count: 0
    .wavefront_size: 32
    .workgroup_processor_mode: 1
amdhsa.target:   amdgcn-amd-amdhsa--gfx1030
amdhsa.version:
  - 1
  - 2
...

	.end_amdgpu_metadata
